;; amdgpu-corpus repo=LLNL/RAJAPerf kind=compiled arch=gfx906 opt=O3
	.amdgcn_target "amdgcn-amd-amdhsa--gfx906"
	.amdhsa_code_object_version 6
	.section	.text._ZN8rajaperf5lcals9hydro_2d1ILm32ELm8EEEvPdS2_S2_S2_S2_S2_ll,"axG",@progbits,_ZN8rajaperf5lcals9hydro_2d1ILm32ELm8EEEvPdS2_S2_S2_S2_S2_ll,comdat
	.protected	_ZN8rajaperf5lcals9hydro_2d1ILm32ELm8EEEvPdS2_S2_S2_S2_S2_ll ; -- Begin function _ZN8rajaperf5lcals9hydro_2d1ILm32ELm8EEEvPdS2_S2_S2_S2_S2_ll
	.globl	_ZN8rajaperf5lcals9hydro_2d1ILm32ELm8EEEvPdS2_S2_S2_S2_S2_ll
	.p2align	8
	.type	_ZN8rajaperf5lcals9hydro_2d1ILm32ELm8EEEvPdS2_S2_S2_S2_S2_ll,@function
_ZN8rajaperf5lcals9hydro_2d1ILm32ELm8EEEvPdS2_S2_S2_S2_S2_ll: ; @_ZN8rajaperf5lcals9hydro_2d1ILm32ELm8EEEvPdS2_S2_S2_S2_S2_ll
; %bb.0:
	s_load_dwordx16 s[8:23], s[4:5], 0x0
	s_mov_b32 s0, s7
	s_mov_b32 s1, 0
	s_lshl_b64 s[2:3], s[0:1], 3
	v_add_u32_e32 v1, 1, v1
	v_mov_b32_e32 v2, s3
	v_add_co_u32_e32 v1, vcc, s2, v1
	s_mov_b32 s7, s1
	v_addc_co_u32_e32 v2, vcc, 0, v2, vcc
	s_lshl_b64 s[2:3], s[6:7], 5
	v_add_u32_e32 v3, 1, v0
	v_mov_b32_e32 v4, s3
	v_add_co_u32_e32 v3, vcc, s2, v3
	s_waitcnt lgkmcnt(0)
	s_add_u32 s0, s22, -1
	v_addc_co_u32_e32 v4, vcc, 0, v4, vcc
	s_addc_u32 s1, s23, -1
	v_cmp_gt_i64_e32 vcc, s[0:1], v[1:2]
	s_add_u32 s0, s20, -1
	s_addc_u32 s1, s21, -1
	v_cmp_gt_i64_e64 s[0:1], s[0:1], v[3:4]
	s_and_b64 s[0:1], vcc, s[0:1]
	s_and_saveexec_b64 s[4:5], s[0:1]
	s_cbranch_execz .LBB0_2
; %bb.1:
	v_mov_b32_e32 v3, s3
	v_add_co_u32_e32 v7, vcc, s2, v0
	v_addc_co_u32_e32 v8, vcc, 0, v3, vcc
	v_add_co_u32_e32 v3, vcc, -1, v7
	v_addc_co_u32_e32 v4, vcc, -1, v8, vcc
	v_mad_u64_u32 v[5:6], s[0:1], s20, v1, v[3:4]
	v_mul_lo_u32 v25, s20, v2
	v_mul_lo_u32 v26, s21, v1
	v_mov_b32_e32 v0, s13
	v_add3_u32 v6, v26, v6, v25
	v_lshlrev_b64 v[5:6], 3, v[5:6]
	v_add_co_u32_e32 v9, vcc, s12, v5
	v_addc_co_u32_e32 v10, vcc, v0, v6, vcc
	v_add_co_u32_e32 v11, vcc, 1, v1
	v_addc_co_u32_e32 v12, vcc, 0, v2, vcc
	v_mad_u64_u32 v[3:4], s[0:1], s20, v11, v[3:4]
	v_mul_lo_u32 v13, s20, v12
	v_mul_lo_u32 v14, s21, v11
	v_mov_b32_e32 v0, s15
	v_add_co_u32_e32 v11, vcc, s14, v5
	v_add3_u32 v4, v14, v4, v13
	v_lshlrev_b64 v[3:4], 3, v[3:4]
	v_addc_co_u32_e32 v12, vcc, v0, v6, vcc
	v_mov_b32_e32 v0, s13
	v_add_co_u32_e32 v13, vcc, s12, v3
	v_addc_co_u32_e32 v14, vcc, v0, v4, vcc
	v_mov_b32_e32 v0, s15
	v_add_co_u32_e32 v15, vcc, s14, v3
	v_addc_co_u32_e32 v16, vcc, v0, v4, vcc
	global_load_dwordx2 v[17:18], v[13:14], off offset:8
	global_load_dwordx2 v[19:20], v[15:16], off offset:8
	;; [unrolled: 1-line block ×3, first 2 shown]
	v_mov_b32_e32 v0, s17
	v_add_co_u32_e32 v13, vcc, s16, v5
	v_addc_co_u32_e32 v14, vcc, v0, v6, vcc
	v_mov_b32_e32 v0, s19
	v_add_co_u32_e32 v15, vcc, s18, v5
	v_addc_co_u32_e32 v16, vcc, v0, v6, vcc
	s_waitcnt vmcnt(1)
	v_add_f64 v[17:18], v[17:18], v[19:20]
	v_add_co_u32_e32 v19, vcc, s18, v3
	v_addc_co_u32_e32 v20, vcc, v0, v4, vcc
	global_load_dwordx4 v[3:6], v[13:14], off offset:8
	global_load_dwordx2 v[23:24], v[11:12], off offset:8
	s_waitcnt vmcnt(2)
	v_add_f64 v[13:14], v[17:18], -v[21:22]
	global_load_dwordx2 v[17:18], v[19:20], off offset:8
	global_load_dwordx2 v[21:22], v[15:16], off offset:8
	s_waitcnt vmcnt(3)
	v_add_f64 v[3:4], v[5:6], v[3:4]
	s_waitcnt vmcnt(2)
	v_add_f64 v[5:6], v[13:14], -v[23:24]
	v_mov_b32_e32 v23, s17
	s_waitcnt vmcnt(0)
	v_add_f64 v[13:14], v[21:22], v[17:18]
	v_mul_f64 v[3:4], v[5:6], v[3:4]
	v_div_scale_f64 v[5:6], s[0:1], v[13:14], v[13:14], v[3:4]
	v_rcp_f64_e32 v[17:18], v[5:6]
	v_fma_f64 v[19:20], -v[5:6], v[17:18], 1.0
	v_fma_f64 v[17:18], v[17:18], v[19:20], v[17:18]
	v_div_scale_f64 v[19:20], vcc, v[3:4], v[13:14], v[3:4]
	v_fma_f64 v[21:22], -v[5:6], v[17:18], 1.0
	v_fma_f64 v[17:18], v[17:18], v[21:22], v[17:18]
	v_mul_f64 v[21:22], v[19:20], v[17:18]
	v_fma_f64 v[5:6], -v[5:6], v[21:22], v[19:20]
	v_div_fmas_f64 v[5:6], v[5:6], v[17:18], v[21:22]
	v_add_co_u32_e32 v17, vcc, -1, v1
	v_addc_co_u32_e32 v0, vcc, -1, v2, vcc
	v_mul_lo_u32 v24, s20, v0
	v_mad_u64_u32 v[0:1], s[0:1], s20, v1, v[7:8]
	v_mov_b32_e32 v21, s9
	v_mul_lo_u32 v27, s21, v17
	v_add3_u32 v1, v26, v1, v25
	v_lshlrev_b64 v[19:20], 3, v[0:1]
	v_mov_b32_e32 v22, s17
	v_add_co_u32_e32 v0, vcc, s8, v19
	v_addc_co_u32_e32 v1, vcc, v21, v20, vcc
	v_div_fixup_f64 v[2:3], v[5:6], v[13:14], v[3:4]
	v_mad_u64_u32 v[13:14], s[0:1], s20, v17, 0
	v_lshlrev_b64 v[17:18], 3, v[7:8]
	v_add3_u32 v14, v14, v24, v27
	global_store_dwordx2 v[0:1], v[2:3], off offset:8
	global_load_dwordx4 v[0:3], v[9:10], off offset:8
	s_nop 0
	global_load_dwordx4 v[4:7], v[11:12], off offset:8
	v_add_co_u32_e32 v10, vcc, s16, v17
	v_lshlrev_b64 v[8:9], 3, v[13:14]
	v_addc_co_u32_e32 v11, vcc, v22, v18, vcc
	v_add_co_u32_e32 v12, vcc, v10, v8
	v_addc_co_u32_e32 v13, vcc, v11, v9, vcc
	v_add_co_u32_e32 v17, vcc, s16, v19
	v_addc_co_u32_e32 v18, vcc, v23, v20, vcc
	global_load_dwordx2 v[21:22], v[17:18], off offset:8
	global_load_dwordx2 v[23:24], v[12:13], off offset:8
	global_load_dwordx4 v[8:11], v[15:16], off offset:8
	s_waitcnt vmcnt(3)
	v_add_f64 v[0:1], v[0:1], v[4:5]
	v_add_f64 v[0:1], v[0:1], -v[2:3]
	s_waitcnt vmcnt(1)
	v_add_f64 v[2:3], v[21:22], v[23:24]
	s_waitcnt vmcnt(0)
	v_add_f64 v[4:5], v[10:11], v[8:9]
	v_add_f64 v[0:1], v[0:1], -v[6:7]
	v_mul_f64 v[0:1], v[0:1], v[2:3]
	v_div_scale_f64 v[2:3], s[0:1], v[4:5], v[4:5], v[0:1]
	v_div_scale_f64 v[10:11], vcc, v[0:1], v[4:5], v[0:1]
	v_rcp_f64_e32 v[6:7], v[2:3]
	v_fma_f64 v[8:9], -v[2:3], v[6:7], 1.0
	v_fma_f64 v[6:7], v[6:7], v[8:9], v[6:7]
	v_fma_f64 v[8:9], -v[2:3], v[6:7], 1.0
	v_fma_f64 v[6:7], v[6:7], v[8:9], v[6:7]
	v_mul_f64 v[8:9], v[10:11], v[6:7]
	v_fma_f64 v[2:3], -v[2:3], v[8:9], v[10:11]
	v_div_fmas_f64 v[2:3], v[2:3], v[6:7], v[8:9]
	v_div_fixup_f64 v[0:1], v[2:3], v[4:5], v[0:1]
	v_mov_b32_e32 v3, s11
	v_add_co_u32_e32 v2, vcc, s10, v19
	v_addc_co_u32_e32 v3, vcc, v3, v20, vcc
	global_store_dwordx2 v[2:3], v[0:1], off offset:8
.LBB0_2:
	s_endpgm
	.section	.rodata,"a",@progbits
	.p2align	6, 0x0
	.amdhsa_kernel _ZN8rajaperf5lcals9hydro_2d1ILm32ELm8EEEvPdS2_S2_S2_S2_S2_ll
		.amdhsa_group_segment_fixed_size 0
		.amdhsa_private_segment_fixed_size 0
		.amdhsa_kernarg_size 64
		.amdhsa_user_sgpr_count 6
		.amdhsa_user_sgpr_private_segment_buffer 1
		.amdhsa_user_sgpr_dispatch_ptr 0
		.amdhsa_user_sgpr_queue_ptr 0
		.amdhsa_user_sgpr_kernarg_segment_ptr 1
		.amdhsa_user_sgpr_dispatch_id 0
		.amdhsa_user_sgpr_flat_scratch_init 0
		.amdhsa_user_sgpr_private_segment_size 0
		.amdhsa_uses_dynamic_stack 0
		.amdhsa_system_sgpr_private_segment_wavefront_offset 0
		.amdhsa_system_sgpr_workgroup_id_x 1
		.amdhsa_system_sgpr_workgroup_id_y 1
		.amdhsa_system_sgpr_workgroup_id_z 0
		.amdhsa_system_sgpr_workgroup_info 0
		.amdhsa_system_vgpr_workitem_id 1
		.amdhsa_next_free_vgpr 28
		.amdhsa_next_free_sgpr 24
		.amdhsa_reserve_vcc 1
		.amdhsa_reserve_flat_scratch 0
		.amdhsa_float_round_mode_32 0
		.amdhsa_float_round_mode_16_64 0
		.amdhsa_float_denorm_mode_32 3
		.amdhsa_float_denorm_mode_16_64 3
		.amdhsa_dx10_clamp 1
		.amdhsa_ieee_mode 1
		.amdhsa_fp16_overflow 0
		.amdhsa_exception_fp_ieee_invalid_op 0
		.amdhsa_exception_fp_denorm_src 0
		.amdhsa_exception_fp_ieee_div_zero 0
		.amdhsa_exception_fp_ieee_overflow 0
		.amdhsa_exception_fp_ieee_underflow 0
		.amdhsa_exception_fp_ieee_inexact 0
		.amdhsa_exception_int_div_zero 0
	.end_amdhsa_kernel
	.section	.text._ZN8rajaperf5lcals9hydro_2d1ILm32ELm8EEEvPdS2_S2_S2_S2_S2_ll,"axG",@progbits,_ZN8rajaperf5lcals9hydro_2d1ILm32ELm8EEEvPdS2_S2_S2_S2_S2_ll,comdat
.Lfunc_end0:
	.size	_ZN8rajaperf5lcals9hydro_2d1ILm32ELm8EEEvPdS2_S2_S2_S2_S2_ll, .Lfunc_end0-_ZN8rajaperf5lcals9hydro_2d1ILm32ELm8EEEvPdS2_S2_S2_S2_S2_ll
                                        ; -- End function
	.set _ZN8rajaperf5lcals9hydro_2d1ILm32ELm8EEEvPdS2_S2_S2_S2_S2_ll.num_vgpr, 28
	.set _ZN8rajaperf5lcals9hydro_2d1ILm32ELm8EEEvPdS2_S2_S2_S2_S2_ll.num_agpr, 0
	.set _ZN8rajaperf5lcals9hydro_2d1ILm32ELm8EEEvPdS2_S2_S2_S2_S2_ll.numbered_sgpr, 24
	.set _ZN8rajaperf5lcals9hydro_2d1ILm32ELm8EEEvPdS2_S2_S2_S2_S2_ll.num_named_barrier, 0
	.set _ZN8rajaperf5lcals9hydro_2d1ILm32ELm8EEEvPdS2_S2_S2_S2_S2_ll.private_seg_size, 0
	.set _ZN8rajaperf5lcals9hydro_2d1ILm32ELm8EEEvPdS2_S2_S2_S2_S2_ll.uses_vcc, 1
	.set _ZN8rajaperf5lcals9hydro_2d1ILm32ELm8EEEvPdS2_S2_S2_S2_S2_ll.uses_flat_scratch, 0
	.set _ZN8rajaperf5lcals9hydro_2d1ILm32ELm8EEEvPdS2_S2_S2_S2_S2_ll.has_dyn_sized_stack, 0
	.set _ZN8rajaperf5lcals9hydro_2d1ILm32ELm8EEEvPdS2_S2_S2_S2_S2_ll.has_recursion, 0
	.set _ZN8rajaperf5lcals9hydro_2d1ILm32ELm8EEEvPdS2_S2_S2_S2_S2_ll.has_indirect_call, 0
	.section	.AMDGPU.csdata,"",@progbits
; Kernel info:
; codeLenInByte = 844
; TotalNumSgprs: 28
; NumVgprs: 28
; ScratchSize: 0
; MemoryBound: 0
; FloatMode: 240
; IeeeMode: 1
; LDSByteSize: 0 bytes/workgroup (compile time only)
; SGPRBlocks: 3
; VGPRBlocks: 6
; NumSGPRsForWavesPerEU: 28
; NumVGPRsForWavesPerEU: 28
; Occupancy: 9
; WaveLimiterHint : 0
; COMPUTE_PGM_RSRC2:SCRATCH_EN: 0
; COMPUTE_PGM_RSRC2:USER_SGPR: 6
; COMPUTE_PGM_RSRC2:TRAP_HANDLER: 0
; COMPUTE_PGM_RSRC2:TGID_X_EN: 1
; COMPUTE_PGM_RSRC2:TGID_Y_EN: 1
; COMPUTE_PGM_RSRC2:TGID_Z_EN: 0
; COMPUTE_PGM_RSRC2:TIDIG_COMP_CNT: 1
	.section	.text._ZN8rajaperf5lcals9hydro_2d2ILm32ELm8EEEvPdS2_S2_S2_S2_S2_dll,"axG",@progbits,_ZN8rajaperf5lcals9hydro_2d2ILm32ELm8EEEvPdS2_S2_S2_S2_S2_dll,comdat
	.protected	_ZN8rajaperf5lcals9hydro_2d2ILm32ELm8EEEvPdS2_S2_S2_S2_S2_dll ; -- Begin function _ZN8rajaperf5lcals9hydro_2d2ILm32ELm8EEEvPdS2_S2_S2_S2_S2_dll
	.globl	_ZN8rajaperf5lcals9hydro_2d2ILm32ELm8EEEvPdS2_S2_S2_S2_S2_dll
	.p2align	8
	.type	_ZN8rajaperf5lcals9hydro_2d2ILm32ELm8EEEvPdS2_S2_S2_S2_S2_dll,@function
_ZN8rajaperf5lcals9hydro_2d2ILm32ELm8EEEvPdS2_S2_S2_S2_S2_dll: ; @_ZN8rajaperf5lcals9hydro_2d2ILm32ELm8EEEvPdS2_S2_S2_S2_S2_dll
; %bb.0:
	s_load_dwordx16 s[8:23], s[4:5], 0x0
	s_load_dwordx2 s[24:25], s[4:5], 0x40
	s_mov_b32 s0, s7
	s_mov_b32 s1, 0
	s_lshl_b64 s[2:3], s[0:1], 3
	v_add_u32_e32 v1, 1, v1
	v_mov_b32_e32 v2, s3
	v_add_co_u32_e32 v1, vcc, s2, v1
	s_mov_b32 s7, s1
	v_addc_co_u32_e32 v2, vcc, 0, v2, vcc
	s_lshl_b64 s[2:3], s[6:7], 5
	v_add_u32_e32 v3, 1, v0
	v_mov_b32_e32 v4, s3
	v_add_co_u32_e32 v3, vcc, s2, v3
	s_waitcnt lgkmcnt(0)
	s_add_u32 s0, s24, -1
	v_addc_co_u32_e32 v4, vcc, 0, v4, vcc
	s_addc_u32 s1, s25, -1
	v_cmp_gt_i64_e32 vcc, s[0:1], v[1:2]
	s_add_u32 s0, s22, -1
	s_addc_u32 s1, s23, -1
	v_cmp_gt_i64_e64 s[0:1], s[0:1], v[3:4]
	s_and_b64 s[0:1], vcc, s[0:1]
	s_and_saveexec_b64 s[4:5], s[0:1]
	s_cbranch_execz .LBB1_2
; %bb.1:
	v_mul_lo_u32 v3, s23, v1
	v_mul_lo_u32 v2, s22, v2
	v_mad_u64_u32 v[8:9], s[0:1], s22, v1, 0
	v_mov_b32_e32 v1, s3
	v_add_co_u32_e32 v18, vcc, s2, v0
	v_addc_co_u32_e32 v19, vcc, 0, v1, vcc
	v_add3_u32 v17, v9, v2, v3
	v_add_co_u32_e32 v0, vcc, v8, v18
	v_addc_co_u32_e32 v1, vcc, v17, v19, vcc
	v_lshlrev_b64 v[9:10], 3, v[0:1]
	v_mov_b32_e32 v0, s17
	v_add_co_u32_e32 v11, vcc, s16, v9
	v_addc_co_u32_e32 v12, vcc, v0, v10, vcc
	global_load_dwordx4 v[0:3], v[11:12], off
	v_mov_b32_e32 v4, s13
	v_add_co_u32_e32 v13, vcc, s12, v9
	v_addc_co_u32_e32 v14, vcc, v4, v10, vcc
	global_load_dwordx2 v[15:16], v[11:12], off offset:16
	global_load_dwordx4 v[4:7], v[13:14], off
	v_mov_b32_e32 v11, s23
	v_subrev_co_u32_e32 v8, vcc, s22, v8
	v_subb_co_u32_e32 v17, vcc, v17, v11, vcc
	s_lshl_b64 s[0:1], s[22:23], 4
	v_mov_b32_e32 v23, s1
	s_lshl_b64 s[2:3], s[22:23], 1
	s_waitcnt vmcnt(2)
	v_add_f64 v[0:1], v[2:3], -v[0:1]
	s_waitcnt vmcnt(1)
	v_add_f64 v[11:12], v[2:3], -v[15:16]
	s_waitcnt vmcnt(0)
	v_mul_f64 v[0:1], v[4:5], v[0:1]
	v_add_co_u32_e32 v4, vcc, v8, v18
	v_addc_co_u32_e32 v5, vcc, v17, v19, vcc
	v_mov_b32_e32 v8, s17
	v_fma_f64 v[0:1], v[6:7], v[11:12], -v[0:1]
	v_lshlrev_b64 v[11:12], 3, v[4:5]
	v_add_co_u32_e32 v6, vcc, s16, v11
	v_addc_co_u32_e32 v7, vcc, v8, v12, vcc
	v_add_co_u32_e32 v15, vcc, s0, v6
	v_addc_co_u32_e32 v16, vcc, v7, v23, vcc
	global_load_dwordx2 v[17:18], v[6:7], off offset:8
	global_load_dwordx2 v[19:20], v[15:16], off offset:8
	v_mov_b32_e32 v15, s3
	v_add_co_u32_e32 v4, vcc, s2, v4
	v_addc_co_u32_e32 v5, vcc, v5, v15, vcc
	v_mov_b32_e32 v8, s15
	v_add_co_u32_e32 v15, vcc, s14, v9
	v_lshlrev_b64 v[4:5], 3, v[4:5]
	v_addc_co_u32_e32 v16, vcc, v8, v10, vcc
	s_waitcnt vmcnt(1)
	v_add_f64 v[6:7], v[2:3], -v[17:18]
	v_mov_b32_e32 v18, s15
	v_add_co_u32_e32 v17, vcc, s14, v4
	v_addc_co_u32_e32 v18, vcc, v18, v5, vcc
	global_load_dwordx2 v[4:5], v[15:16], off offset:8
	s_waitcnt vmcnt(1)
	v_add_f64 v[2:3], v[2:3], -v[19:20]
	s_waitcnt vmcnt(0)
	v_fma_f64 v[0:1], -v[4:5], v[6:7], v[0:1]
	global_load_dwordx2 v[4:5], v[17:18], off offset:8
	v_mov_b32_e32 v7, s9
	v_add_co_u32_e32 v6, vcc, s8, v9
	v_addc_co_u32_e32 v7, vcc, v7, v10, vcc
	v_add_co_u32_e32 v19, vcc, s18, v9
	s_waitcnt vmcnt(0)
	v_fma_f64 v[0:1], v[4:5], v[2:3], v[0:1]
	global_load_dwordx2 v[2:3], v[6:7], off offset:8
	s_waitcnt vmcnt(0)
	v_fma_f64 v[0:1], s[20:21], v[0:1], v[2:3]
	v_mov_b32_e32 v2, s19
	v_addc_co_u32_e32 v20, vcc, v2, v10, vcc
	global_store_dwordx2 v[6:7], v[0:1], off offset:8
	global_load_dwordx4 v[0:3], v[19:20], off
	s_nop 0
	global_load_dwordx2 v[21:22], v[19:20], off offset:16
	global_load_dwordx4 v[4:7], v[13:14], off
	s_waitcnt vmcnt(2)
	v_add_f64 v[0:1], v[2:3], -v[0:1]
	s_waitcnt vmcnt(1)
	v_add_f64 v[13:14], v[2:3], -v[21:22]
	s_waitcnt vmcnt(0)
	v_mul_f64 v[0:1], v[4:5], v[0:1]
	v_mov_b32_e32 v5, s19
	v_add_co_u32_e32 v4, vcc, s18, v11
	v_addc_co_u32_e32 v5, vcc, v5, v12, vcc
	v_fma_f64 v[0:1], v[6:7], v[13:14], -v[0:1]
	global_load_dwordx2 v[6:7], v[4:5], off offset:8
	v_add_co_u32_e32 v4, vcc, s0, v4
	v_addc_co_u32_e32 v5, vcc, v5, v23, vcc
	global_load_dwordx2 v[11:12], v[15:16], off offset:8
	global_load_dwordx2 v[13:14], v[4:5], off offset:8
	;; [unrolled: 1-line block ×3, first 2 shown]
	v_mov_b32_e32 v5, s11
	v_add_co_u32_e32 v4, vcc, s10, v9
	v_addc_co_u32_e32 v5, vcc, v5, v10, vcc
	global_load_dwordx2 v[8:9], v[4:5], off offset:8
	s_waitcnt vmcnt(4)
	v_add_f64 v[6:7], v[2:3], -v[6:7]
	s_waitcnt vmcnt(2)
	v_add_f64 v[2:3], v[2:3], -v[13:14]
	v_fma_f64 v[0:1], -v[11:12], v[6:7], v[0:1]
	s_waitcnt vmcnt(1)
	v_fma_f64 v[0:1], v[19:20], v[2:3], v[0:1]
	s_waitcnt vmcnt(0)
	v_fma_f64 v[0:1], s[20:21], v[0:1], v[8:9]
	global_store_dwordx2 v[4:5], v[0:1], off offset:8
.LBB1_2:
	s_endpgm
	.section	.rodata,"a",@progbits
	.p2align	6, 0x0
	.amdhsa_kernel _ZN8rajaperf5lcals9hydro_2d2ILm32ELm8EEEvPdS2_S2_S2_S2_S2_dll
		.amdhsa_group_segment_fixed_size 0
		.amdhsa_private_segment_fixed_size 0
		.amdhsa_kernarg_size 72
		.amdhsa_user_sgpr_count 6
		.amdhsa_user_sgpr_private_segment_buffer 1
		.amdhsa_user_sgpr_dispatch_ptr 0
		.amdhsa_user_sgpr_queue_ptr 0
		.amdhsa_user_sgpr_kernarg_segment_ptr 1
		.amdhsa_user_sgpr_dispatch_id 0
		.amdhsa_user_sgpr_flat_scratch_init 0
		.amdhsa_user_sgpr_private_segment_size 0
		.amdhsa_uses_dynamic_stack 0
		.amdhsa_system_sgpr_private_segment_wavefront_offset 0
		.amdhsa_system_sgpr_workgroup_id_x 1
		.amdhsa_system_sgpr_workgroup_id_y 1
		.amdhsa_system_sgpr_workgroup_id_z 0
		.amdhsa_system_sgpr_workgroup_info 0
		.amdhsa_system_vgpr_workitem_id 1
		.amdhsa_next_free_vgpr 24
		.amdhsa_next_free_sgpr 26
		.amdhsa_reserve_vcc 1
		.amdhsa_reserve_flat_scratch 0
		.amdhsa_float_round_mode_32 0
		.amdhsa_float_round_mode_16_64 0
		.amdhsa_float_denorm_mode_32 3
		.amdhsa_float_denorm_mode_16_64 3
		.amdhsa_dx10_clamp 1
		.amdhsa_ieee_mode 1
		.amdhsa_fp16_overflow 0
		.amdhsa_exception_fp_ieee_invalid_op 0
		.amdhsa_exception_fp_denorm_src 0
		.amdhsa_exception_fp_ieee_div_zero 0
		.amdhsa_exception_fp_ieee_overflow 0
		.amdhsa_exception_fp_ieee_underflow 0
		.amdhsa_exception_fp_ieee_inexact 0
		.amdhsa_exception_int_div_zero 0
	.end_amdhsa_kernel
	.section	.text._ZN8rajaperf5lcals9hydro_2d2ILm32ELm8EEEvPdS2_S2_S2_S2_S2_dll,"axG",@progbits,_ZN8rajaperf5lcals9hydro_2d2ILm32ELm8EEEvPdS2_S2_S2_S2_S2_dll,comdat
.Lfunc_end1:
	.size	_ZN8rajaperf5lcals9hydro_2d2ILm32ELm8EEEvPdS2_S2_S2_S2_S2_dll, .Lfunc_end1-_ZN8rajaperf5lcals9hydro_2d2ILm32ELm8EEEvPdS2_S2_S2_S2_S2_dll
                                        ; -- End function
	.set _ZN8rajaperf5lcals9hydro_2d2ILm32ELm8EEEvPdS2_S2_S2_S2_S2_dll.num_vgpr, 24
	.set _ZN8rajaperf5lcals9hydro_2d2ILm32ELm8EEEvPdS2_S2_S2_S2_S2_dll.num_agpr, 0
	.set _ZN8rajaperf5lcals9hydro_2d2ILm32ELm8EEEvPdS2_S2_S2_S2_S2_dll.numbered_sgpr, 26
	.set _ZN8rajaperf5lcals9hydro_2d2ILm32ELm8EEEvPdS2_S2_S2_S2_S2_dll.num_named_barrier, 0
	.set _ZN8rajaperf5lcals9hydro_2d2ILm32ELm8EEEvPdS2_S2_S2_S2_S2_dll.private_seg_size, 0
	.set _ZN8rajaperf5lcals9hydro_2d2ILm32ELm8EEEvPdS2_S2_S2_S2_S2_dll.uses_vcc, 1
	.set _ZN8rajaperf5lcals9hydro_2d2ILm32ELm8EEEvPdS2_S2_S2_S2_S2_dll.uses_flat_scratch, 0
	.set _ZN8rajaperf5lcals9hydro_2d2ILm32ELm8EEEvPdS2_S2_S2_S2_S2_dll.has_dyn_sized_stack, 0
	.set _ZN8rajaperf5lcals9hydro_2d2ILm32ELm8EEEvPdS2_S2_S2_S2_S2_dll.has_recursion, 0
	.set _ZN8rajaperf5lcals9hydro_2d2ILm32ELm8EEEvPdS2_S2_S2_S2_S2_dll.has_indirect_call, 0
	.section	.AMDGPU.csdata,"",@progbits
; Kernel info:
; codeLenInByte = 712
; TotalNumSgprs: 30
; NumVgprs: 24
; ScratchSize: 0
; MemoryBound: 0
; FloatMode: 240
; IeeeMode: 1
; LDSByteSize: 0 bytes/workgroup (compile time only)
; SGPRBlocks: 3
; VGPRBlocks: 5
; NumSGPRsForWavesPerEU: 30
; NumVGPRsForWavesPerEU: 24
; Occupancy: 10
; WaveLimiterHint : 0
; COMPUTE_PGM_RSRC2:SCRATCH_EN: 0
; COMPUTE_PGM_RSRC2:USER_SGPR: 6
; COMPUTE_PGM_RSRC2:TRAP_HANDLER: 0
; COMPUTE_PGM_RSRC2:TGID_X_EN: 1
; COMPUTE_PGM_RSRC2:TGID_Y_EN: 1
; COMPUTE_PGM_RSRC2:TGID_Z_EN: 0
; COMPUTE_PGM_RSRC2:TIDIG_COMP_CNT: 1
	.section	.text._ZN8rajaperf5lcals9hydro_2d3ILm32ELm8EEEvPdS2_S2_S2_S2_S2_dll,"axG",@progbits,_ZN8rajaperf5lcals9hydro_2d3ILm32ELm8EEEvPdS2_S2_S2_S2_S2_dll,comdat
	.protected	_ZN8rajaperf5lcals9hydro_2d3ILm32ELm8EEEvPdS2_S2_S2_S2_S2_dll ; -- Begin function _ZN8rajaperf5lcals9hydro_2d3ILm32ELm8EEEvPdS2_S2_S2_S2_S2_dll
	.globl	_ZN8rajaperf5lcals9hydro_2d3ILm32ELm8EEEvPdS2_S2_S2_S2_S2_dll
	.p2align	8
	.type	_ZN8rajaperf5lcals9hydro_2d3ILm32ELm8EEEvPdS2_S2_S2_S2_S2_dll,@function
_ZN8rajaperf5lcals9hydro_2d3ILm32ELm8EEEvPdS2_S2_S2_S2_S2_dll: ; @_ZN8rajaperf5lcals9hydro_2d3ILm32ELm8EEEvPdS2_S2_S2_S2_S2_dll
; %bb.0:
	s_load_dwordx16 s[8:23], s[4:5], 0x0
	s_load_dwordx2 s[24:25], s[4:5], 0x40
	s_mov_b32 s0, s7
	s_mov_b32 s1, 0
	s_lshl_b64 s[2:3], s[0:1], 3
	v_add_u32_e32 v1, 1, v1
	v_mov_b32_e32 v2, s3
	v_add_co_u32_e32 v1, vcc, s2, v1
	s_mov_b32 s7, s1
	v_addc_co_u32_e32 v2, vcc, 0, v2, vcc
	s_lshl_b64 s[2:3], s[6:7], 5
	v_add_u32_e32 v3, 1, v0
	v_mov_b32_e32 v4, s3
	v_add_co_u32_e32 v3, vcc, s2, v3
	s_waitcnt lgkmcnt(0)
	s_add_u32 s0, s24, -1
	v_addc_co_u32_e32 v4, vcc, 0, v4, vcc
	s_addc_u32 s1, s25, -1
	v_cmp_gt_i64_e32 vcc, s[0:1], v[1:2]
	s_add_u32 s0, s22, -1
	s_addc_u32 s1, s23, -1
	v_cmp_gt_i64_e64 s[0:1], s[0:1], v[3:4]
	s_and_b64 s[0:1], vcc, s[0:1]
	s_and_saveexec_b64 s[4:5], s[0:1]
	s_cbranch_execz .LBB2_2
; %bb.1:
	v_mov_b32_e32 v4, s3
	v_add_co_u32_e32 v3, vcc, s2, v0
	v_addc_co_u32_e32 v4, vcc, 0, v4, vcc
	v_mul_lo_u32 v2, s22, v2
	v_mul_lo_u32 v5, s23, v1
	v_mad_u64_u32 v[0:1], s[0:1], s22, v1, v[3:4]
	v_mov_b32_e32 v3, s13
	v_mov_b32_e32 v7, s9
	v_add3_u32 v1, v5, v1, v2
	v_lshlrev_b64 v[0:1], 3, v[0:1]
	v_mov_b32_e32 v5, s15
	v_add_co_u32_e32 v2, vcc, s12, v0
	v_addc_co_u32_e32 v3, vcc, v3, v1, vcc
	v_add_co_u32_e32 v4, vcc, s14, v0
	v_addc_co_u32_e32 v5, vcc, v5, v1, vcc
	global_load_dwordx2 v[2:3], v[2:3], off offset:8
	v_add_co_u32_e32 v6, vcc, s8, v0
	global_load_dwordx2 v[4:5], v[4:5], off offset:8
	v_addc_co_u32_e32 v7, vcc, v7, v1, vcc
	v_mov_b32_e32 v8, s17
	v_mov_b32_e32 v9, s19
	s_waitcnt vmcnt(0)
	v_fma_f64 v[2:3], s[20:21], v[4:5], v[2:3]
	v_add_co_u32_e32 v4, vcc, s16, v0
	v_addc_co_u32_e32 v5, vcc, v8, v1, vcc
	v_add_co_u32_e32 v8, vcc, s18, v0
	v_addc_co_u32_e32 v9, vcc, v9, v1, vcc
	global_store_dwordx2 v[6:7], v[2:3], off offset:8
	global_load_dwordx2 v[2:3], v[4:5], off offset:8
	s_nop 0
	global_load_dwordx2 v[6:7], v[8:9], off offset:8
	v_mov_b32_e32 v4, s11
	v_add_co_u32_e32 v0, vcc, s10, v0
	v_addc_co_u32_e32 v1, vcc, v4, v1, vcc
	s_waitcnt vmcnt(0)
	v_fma_f64 v[2:3], s[20:21], v[6:7], v[2:3]
	global_store_dwordx2 v[0:1], v[2:3], off offset:8
.LBB2_2:
	s_endpgm
	.section	.rodata,"a",@progbits
	.p2align	6, 0x0
	.amdhsa_kernel _ZN8rajaperf5lcals9hydro_2d3ILm32ELm8EEEvPdS2_S2_S2_S2_S2_dll
		.amdhsa_group_segment_fixed_size 0
		.amdhsa_private_segment_fixed_size 0
		.amdhsa_kernarg_size 72
		.amdhsa_user_sgpr_count 6
		.amdhsa_user_sgpr_private_segment_buffer 1
		.amdhsa_user_sgpr_dispatch_ptr 0
		.amdhsa_user_sgpr_queue_ptr 0
		.amdhsa_user_sgpr_kernarg_segment_ptr 1
		.amdhsa_user_sgpr_dispatch_id 0
		.amdhsa_user_sgpr_flat_scratch_init 0
		.amdhsa_user_sgpr_private_segment_size 0
		.amdhsa_uses_dynamic_stack 0
		.amdhsa_system_sgpr_private_segment_wavefront_offset 0
		.amdhsa_system_sgpr_workgroup_id_x 1
		.amdhsa_system_sgpr_workgroup_id_y 1
		.amdhsa_system_sgpr_workgroup_id_z 0
		.amdhsa_system_sgpr_workgroup_info 0
		.amdhsa_system_vgpr_workitem_id 1
		.amdhsa_next_free_vgpr 10
		.amdhsa_next_free_sgpr 26
		.amdhsa_reserve_vcc 1
		.amdhsa_reserve_flat_scratch 0
		.amdhsa_float_round_mode_32 0
		.amdhsa_float_round_mode_16_64 0
		.amdhsa_float_denorm_mode_32 3
		.amdhsa_float_denorm_mode_16_64 3
		.amdhsa_dx10_clamp 1
		.amdhsa_ieee_mode 1
		.amdhsa_fp16_overflow 0
		.amdhsa_exception_fp_ieee_invalid_op 0
		.amdhsa_exception_fp_denorm_src 0
		.amdhsa_exception_fp_ieee_div_zero 0
		.amdhsa_exception_fp_ieee_overflow 0
		.amdhsa_exception_fp_ieee_underflow 0
		.amdhsa_exception_fp_ieee_inexact 0
		.amdhsa_exception_int_div_zero 0
	.end_amdhsa_kernel
	.section	.text._ZN8rajaperf5lcals9hydro_2d3ILm32ELm8EEEvPdS2_S2_S2_S2_S2_dll,"axG",@progbits,_ZN8rajaperf5lcals9hydro_2d3ILm32ELm8EEEvPdS2_S2_S2_S2_S2_dll,comdat
.Lfunc_end2:
	.size	_ZN8rajaperf5lcals9hydro_2d3ILm32ELm8EEEvPdS2_S2_S2_S2_S2_dll, .Lfunc_end2-_ZN8rajaperf5lcals9hydro_2d3ILm32ELm8EEEvPdS2_S2_S2_S2_S2_dll
                                        ; -- End function
	.set _ZN8rajaperf5lcals9hydro_2d3ILm32ELm8EEEvPdS2_S2_S2_S2_S2_dll.num_vgpr, 10
	.set _ZN8rajaperf5lcals9hydro_2d3ILm32ELm8EEEvPdS2_S2_S2_S2_S2_dll.num_agpr, 0
	.set _ZN8rajaperf5lcals9hydro_2d3ILm32ELm8EEEvPdS2_S2_S2_S2_S2_dll.numbered_sgpr, 26
	.set _ZN8rajaperf5lcals9hydro_2d3ILm32ELm8EEEvPdS2_S2_S2_S2_S2_dll.num_named_barrier, 0
	.set _ZN8rajaperf5lcals9hydro_2d3ILm32ELm8EEEvPdS2_S2_S2_S2_S2_dll.private_seg_size, 0
	.set _ZN8rajaperf5lcals9hydro_2d3ILm32ELm8EEEvPdS2_S2_S2_S2_S2_dll.uses_vcc, 1
	.set _ZN8rajaperf5lcals9hydro_2d3ILm32ELm8EEEvPdS2_S2_S2_S2_S2_dll.uses_flat_scratch, 0
	.set _ZN8rajaperf5lcals9hydro_2d3ILm32ELm8EEEvPdS2_S2_S2_S2_S2_dll.has_dyn_sized_stack, 0
	.set _ZN8rajaperf5lcals9hydro_2d3ILm32ELm8EEEvPdS2_S2_S2_S2_S2_dll.has_recursion, 0
	.set _ZN8rajaperf5lcals9hydro_2d3ILm32ELm8EEEvPdS2_S2_S2_S2_S2_dll.has_indirect_call, 0
	.section	.AMDGPU.csdata,"",@progbits
; Kernel info:
; codeLenInByte = 316
; TotalNumSgprs: 30
; NumVgprs: 10
; ScratchSize: 0
; MemoryBound: 0
; FloatMode: 240
; IeeeMode: 1
; LDSByteSize: 0 bytes/workgroup (compile time only)
; SGPRBlocks: 3
; VGPRBlocks: 2
; NumSGPRsForWavesPerEU: 30
; NumVGPRsForWavesPerEU: 10
; Occupancy: 10
; WaveLimiterHint : 0
; COMPUTE_PGM_RSRC2:SCRATCH_EN: 0
; COMPUTE_PGM_RSRC2:USER_SGPR: 6
; COMPUTE_PGM_RSRC2:TRAP_HANDLER: 0
; COMPUTE_PGM_RSRC2:TGID_X_EN: 1
; COMPUTE_PGM_RSRC2:TGID_Y_EN: 1
; COMPUTE_PGM_RSRC2:TGID_Z_EN: 0
; COMPUTE_PGM_RSRC2:TIDIG_COMP_CNT: 1
	.section	.text._ZN4RAJA8internal22HipKernelLauncherFixedILi256ENS0_8LoopDataIN4camp5tupleIJNS_4SpanINS_9Iterators16numeric_iteratorIllPlEElEESA_EEENS4_IJEEENS3_9resources2v13HipEJZN8rajaperf5lcals8HYDRO_2D17runHipVariantImplILm256EEEvNSG_9VariantIDEEUlllE_EEENS0_24HipStatementListExecutorISM_NS3_4listIJNS_9statement3ForILl0ENS_6policy3hip11hip_indexerINS_17iteration_mapping6DirectELNS_23kernel_sync_requirementE0EJNS_3hip11IndexGlobalILNS_9named_dimE1ELi8ELi0EEEEEEJNSQ_ILl1ENST_ISV_LSW_0EJNSY_ILSZ_0ELi32ELi0EEEEEEJNSP_6LambdaILl0EJEEEEEEEEEEEENS0_9LoopTypesINSO_IJvvEEES1A_EEEEEEvT0_,"axG",@progbits,_ZN4RAJA8internal22HipKernelLauncherFixedILi256ENS0_8LoopDataIN4camp5tupleIJNS_4SpanINS_9Iterators16numeric_iteratorIllPlEElEESA_EEENS4_IJEEENS3_9resources2v13HipEJZN8rajaperf5lcals8HYDRO_2D17runHipVariantImplILm256EEEvNSG_9VariantIDEEUlllE_EEENS0_24HipStatementListExecutorISM_NS3_4listIJNS_9statement3ForILl0ENS_6policy3hip11hip_indexerINS_17iteration_mapping6DirectELNS_23kernel_sync_requirementE0EJNS_3hip11IndexGlobalILNS_9named_dimE1ELi8ELi0EEEEEEJNSQ_ILl1ENST_ISV_LSW_0EJNSY_ILSZ_0ELi32ELi0EEEEEEJNSP_6LambdaILl0EJEEEEEEEEEEEENS0_9LoopTypesINSO_IJvvEEES1A_EEEEEEvT0_,comdat
	.protected	_ZN4RAJA8internal22HipKernelLauncherFixedILi256ENS0_8LoopDataIN4camp5tupleIJNS_4SpanINS_9Iterators16numeric_iteratorIllPlEElEESA_EEENS4_IJEEENS3_9resources2v13HipEJZN8rajaperf5lcals8HYDRO_2D17runHipVariantImplILm256EEEvNSG_9VariantIDEEUlllE_EEENS0_24HipStatementListExecutorISM_NS3_4listIJNS_9statement3ForILl0ENS_6policy3hip11hip_indexerINS_17iteration_mapping6DirectELNS_23kernel_sync_requirementE0EJNS_3hip11IndexGlobalILNS_9named_dimE1ELi8ELi0EEEEEEJNSQ_ILl1ENST_ISV_LSW_0EJNSY_ILSZ_0ELi32ELi0EEEEEEJNSP_6LambdaILl0EJEEEEEEEEEEEENS0_9LoopTypesINSO_IJvvEEES1A_EEEEEEvT0_ ; -- Begin function _ZN4RAJA8internal22HipKernelLauncherFixedILi256ENS0_8LoopDataIN4camp5tupleIJNS_4SpanINS_9Iterators16numeric_iteratorIllPlEElEESA_EEENS4_IJEEENS3_9resources2v13HipEJZN8rajaperf5lcals8HYDRO_2D17runHipVariantImplILm256EEEvNSG_9VariantIDEEUlllE_EEENS0_24HipStatementListExecutorISM_NS3_4listIJNS_9statement3ForILl0ENS_6policy3hip11hip_indexerINS_17iteration_mapping6DirectELNS_23kernel_sync_requirementE0EJNS_3hip11IndexGlobalILNS_9named_dimE1ELi8ELi0EEEEEEJNSQ_ILl1ENST_ISV_LSW_0EJNSY_ILSZ_0ELi32ELi0EEEEEEJNSP_6LambdaILl0EJEEEEEEEEEEEENS0_9LoopTypesINSO_IJvvEEES1A_EEEEEEvT0_
	.globl	_ZN4RAJA8internal22HipKernelLauncherFixedILi256ENS0_8LoopDataIN4camp5tupleIJNS_4SpanINS_9Iterators16numeric_iteratorIllPlEElEESA_EEENS4_IJEEENS3_9resources2v13HipEJZN8rajaperf5lcals8HYDRO_2D17runHipVariantImplILm256EEEvNSG_9VariantIDEEUlllE_EEENS0_24HipStatementListExecutorISM_NS3_4listIJNS_9statement3ForILl0ENS_6policy3hip11hip_indexerINS_17iteration_mapping6DirectELNS_23kernel_sync_requirementE0EJNS_3hip11IndexGlobalILNS_9named_dimE1ELi8ELi0EEEEEEJNSQ_ILl1ENST_ISV_LSW_0EJNSY_ILSZ_0ELi32ELi0EEEEEEJNSP_6LambdaILl0EJEEEEEEEEEEEENS0_9LoopTypesINSO_IJvvEEES1A_EEEEEEvT0_
	.p2align	8
	.type	_ZN4RAJA8internal22HipKernelLauncherFixedILi256ENS0_8LoopDataIN4camp5tupleIJNS_4SpanINS_9Iterators16numeric_iteratorIllPlEElEESA_EEENS4_IJEEENS3_9resources2v13HipEJZN8rajaperf5lcals8HYDRO_2D17runHipVariantImplILm256EEEvNSG_9VariantIDEEUlllE_EEENS0_24HipStatementListExecutorISM_NS3_4listIJNS_9statement3ForILl0ENS_6policy3hip11hip_indexerINS_17iteration_mapping6DirectELNS_23kernel_sync_requirementE0EJNS_3hip11IndexGlobalILNS_9named_dimE1ELi8ELi0EEEEEEJNSQ_ILl1ENST_ISV_LSW_0EJNSY_ILSZ_0ELi32ELi0EEEEEEJNSP_6LambdaILl0EJEEEEEEEEEEEENS0_9LoopTypesINSO_IJvvEEES1A_EEEEEEvT0_,@function
_ZN4RAJA8internal22HipKernelLauncherFixedILi256ENS0_8LoopDataIN4camp5tupleIJNS_4SpanINS_9Iterators16numeric_iteratorIllPlEElEESA_EEENS4_IJEEENS3_9resources2v13HipEJZN8rajaperf5lcals8HYDRO_2D17runHipVariantImplILm256EEEvNSG_9VariantIDEEUlllE_EEENS0_24HipStatementListExecutorISM_NS3_4listIJNS_9statement3ForILl0ENS_6policy3hip11hip_indexerINS_17iteration_mapping6DirectELNS_23kernel_sync_requirementE0EJNS_3hip11IndexGlobalILNS_9named_dimE1ELi8ELi0EEEEEEJNSQ_ILl1ENST_ISV_LSW_0EJNSY_ILSZ_0ELi32ELi0EEEEEEJNSP_6LambdaILl0EJEEEEEEEEEEEENS0_9LoopTypesINSO_IJvvEEES1A_EEEEEEvT0_: ; @_ZN4RAJA8internal22HipKernelLauncherFixedILi256ENS0_8LoopDataIN4camp5tupleIJNS_4SpanINS_9Iterators16numeric_iteratorIllPlEElEESA_EEENS4_IJEEENS3_9resources2v13HipEJZN8rajaperf5lcals8HYDRO_2D17runHipVariantImplILm256EEEvNSG_9VariantIDEEUlllE_EEENS0_24HipStatementListExecutorISM_NS3_4listIJNS_9statement3ForILl0ENS_6policy3hip11hip_indexerINS_17iteration_mapping6DirectELNS_23kernel_sync_requirementE0EJNS_3hip11IndexGlobalILNS_9named_dimE1ELi8ELi0EEEEEEJNSQ_ILl1ENST_ISV_LSW_0EJNSY_ILSZ_0ELi32ELi0EEEEEEJNSP_6LambdaILl0EJEEEEEEEEEEEENS0_9LoopTypesINSO_IJvvEEES1A_EEEEEEvT0_
; %bb.0:
	s_load_dwordx8 s[8:15], s[4:5], 0x0
	s_mov_b32 s0, s7
	s_mov_b32 s1, 0
	;; [unrolled: 1-line block ×3, first 2 shown]
	s_waitcnt lgkmcnt(0)
	s_sub_u32 s2, s10, s8
	s_subb_u32 s3, s11, s9
	s_lshl_b64 s[10:11], s[0:1], 3
	v_mov_b32_e32 v2, s11
	v_add_co_u32_e32 v1, vcc, s10, v1
	v_addc_co_u32_e32 v2, vcc, 0, v2, vcc
	v_cmp_gt_i64_e32 vcc, s[2:3], v[1:2]
	s_sub_u32 s2, s14, s12
	s_subb_u32 s3, s15, s13
	s_lshl_b64 s[0:1], s[6:7], 5
	v_mov_b32_e32 v4, s1
	v_add_co_u32_e64 v3, s[0:1], s0, v0
	v_addc_co_u32_e64 v4, s[0:1], 0, v4, s[0:1]
	v_cmp_gt_i64_e64 s[0:1], s[2:3], v[3:4]
	s_and_b64 s[0:1], vcc, s[0:1]
	s_and_saveexec_b64 s[2:3], s[0:1]
	s_cbranch_execz .LBB3_2
; %bb.1:
	s_load_dwordx2 s[0:1], s[4:5], 0xe0
	s_load_dwordx2 s[2:3], s[4:5], 0x110
	;; [unrolled: 1-line block ×5, first 2 shown]
	v_mov_b32_e32 v0, s9
	v_add_co_u32_e32 v26, vcc, s8, v1
	v_addc_co_u32_e32 v27, vcc, v0, v2, vcc
	s_waitcnt lgkmcnt(0)
	v_mul_lo_u32 v6, s7, v26
	v_mul_lo_u32 v7, s6, v27
	v_mad_u64_u32 v[0:1], s[8:9], s6, v26, 0
	v_mov_b32_e32 v5, s13
	v_add_co_u32_e32 v2, vcc, s12, v3
	v_addc_co_u32_e32 v3, vcc, v5, v4, vcc
	v_add3_u32 v1, v1, v7, v6
	v_mov_b32_e32 v5, s7
	v_add_co_u32_e32 v4, vcc, s6, v0
	v_lshlrev_b64 v[12:13], 3, v[2:3]
	v_addc_co_u32_e32 v5, vcc, v1, v5, vcc
	v_mov_b32_e32 v2, s15
	v_add_co_u32_e32 v14, vcc, s14, v12
	v_addc_co_u32_e32 v15, vcc, v2, v13, vcc
	v_lshlrev_b64 v[2:3], 3, v[4:5]
	v_mul_lo_u32 v6, s1, v26
	v_mul_lo_u32 v7, s0, v27
	v_mad_u64_u32 v[4:5], s[8:9], s0, v26, 0
	v_add_co_u32_e32 v2, vcc, v14, v2
	v_addc_co_u32_e32 v3, vcc, v15, v3, vcc
	v_add3_u32 v5, v5, v7, v6
	v_mov_b32_e32 v7, s1
	v_add_co_u32_e32 v6, vcc, s0, v4
	v_addc_co_u32_e32 v7, vcc, v5, v7, vcc
	v_mov_b32_e32 v8, s11
	v_add_co_u32_e32 v16, vcc, s10, v12
	v_lshlrev_b64 v[6:7], 3, v[6:7]
	v_addc_co_u32_e32 v17, vcc, v8, v13, vcc
	v_add_co_u32_e32 v6, vcc, v16, v6
	v_addc_co_u32_e32 v7, vcc, v17, v7, vcc
	global_load_dwordx2 v[8:9], v[2:3], off offset:-8
	global_load_dwordx2 v[10:11], v[6:7], off offset:-8
	v_lshlrev_b64 v[0:1], 3, v[0:1]
	v_lshlrev_b64 v[2:3], 3, v[4:5]
	v_add_co_u32_e32 v14, vcc, v14, v0
	v_addc_co_u32_e32 v15, vcc, v15, v1, vcc
	global_load_dwordx2 v[0:1], v[14:15], off offset:-8
	s_load_dwordx2 s[8:9], s[4:5], 0x170
	s_load_dwordx2 s[0:1], s[4:5], 0x128
	;; [unrolled: 1-line block ×4, first 2 shown]
	v_add_co_u32_e32 v16, vcc, v16, v2
	s_waitcnt lgkmcnt(0)
	v_mul_lo_u32 v6, s9, v26
	v_mul_lo_u32 v7, s8, v27
	v_mad_u64_u32 v[4:5], s[14:15], s8, v26, 0
	v_addc_co_u32_e32 v17, vcc, v17, v3, vcc
	v_mov_b32_e32 v2, s13
	v_add3_u32 v5, v5, v7, v6
	v_add_co_u32_e32 v6, vcc, s12, v12
	v_addc_co_u32_e32 v7, vcc, v2, v13, vcc
	v_lshlrev_b64 v[2:3], 3, v[4:5]
	v_mul_lo_u32 v4, s1, v26
	v_mul_lo_u32 v5, s0, v27
	v_mad_u64_u32 v[18:19], s[12:13], s0, v26, 0
	v_add_co_u32_e32 v20, vcc, v6, v2
	v_addc_co_u32_e32 v21, vcc, v7, v3, vcc
	v_add3_u32 v19, v19, v5, v4
	v_mov_b32_e32 v4, s3
	v_add_co_u32_e32 v28, vcc, s2, v12
	v_addc_co_u32_e32 v29, vcc, v4, v13, vcc
	v_lshlrev_b64 v[4:5], 3, v[18:19]
	s_lshl_b64 s[2:3], s[8:9], 3
	v_add_co_u32_e32 v22, vcc, v28, v4
	v_addc_co_u32_e32 v23, vcc, v29, v5, vcc
	s_load_dwordx2 s[6:7], s[4:5], 0x50
	s_waitcnt vmcnt(1)
	v_add_f64 v[2:3], v[8:9], v[10:11]
	v_mov_b32_e32 v9, s3
	v_add_co_u32_e32 v8, vcc, s2, v20
	v_addc_co_u32_e32 v9, vcc, v21, v9, vcc
	s_waitcnt vmcnt(0)
	v_add_f64 v[4:5], v[2:3], -v[0:1]
	global_load_dwordx4 v[0:3], v[22:23], off offset:-8
	global_load_dwordx2 v[6:7], v[16:17], off offset:-8
	global_load_dwordx2 v[10:11], v[8:9], off offset:-8
	;; [unrolled: 1-line block ×3, first 2 shown]
	s_waitcnt vmcnt(3)
	v_add_f64 v[0:1], v[2:3], v[0:1]
	s_waitcnt vmcnt(2)
	v_add_f64 v[2:3], v[4:5], -v[6:7]
	s_waitcnt vmcnt(0)
	v_add_f64 v[4:5], v[24:25], v[10:11]
	v_mul_f64 v[0:1], v[2:3], v[0:1]
	v_div_scale_f64 v[2:3], s[2:3], v[4:5], v[4:5], v[0:1]
	s_load_dwordx2 s[2:3], s[4:5], 0x38
	v_rcp_f64_e32 v[6:7], v[2:3]
	v_fma_f64 v[8:9], -v[2:3], v[6:7], 1.0
	v_fma_f64 v[6:7], v[6:7], v[8:9], v[6:7]
	v_div_scale_f64 v[8:9], vcc, v[0:1], v[4:5], v[0:1]
	v_fma_f64 v[10:11], -v[2:3], v[6:7], 1.0
	v_fma_f64 v[6:7], v[6:7], v[10:11], v[6:7]
	v_mul_f64 v[10:11], v[8:9], v[6:7]
	v_fma_f64 v[2:3], -v[2:3], v[10:11], v[8:9]
	s_waitcnt lgkmcnt(0)
	v_mul_lo_u32 v8, s7, v26
	v_mul_lo_u32 v9, s6, v27
	v_div_fmas_f64 v[2:3], v[2:3], v[6:7], v[10:11]
	v_mad_u64_u32 v[6:7], s[6:7], s6, v26, 0
	v_mov_b32_e32 v10, s3
	v_add3_u32 v7, v7, v9, v8
	v_mov_b32_e32 v9, s1
	v_div_fixup_f64 v[0:1], v[2:3], v[4:5], v[0:1]
	v_add_co_u32_e32 v4, vcc, s2, v12
	v_lshlrev_b64 v[2:3], 3, v[6:7]
	v_addc_co_u32_e32 v5, vcc, v10, v13, vcc
	v_add_co_u32_e32 v2, vcc, v4, v2
	v_addc_co_u32_e32 v3, vcc, v5, v3, vcc
	global_store_dwordx2 v[2:3], v[0:1], off
	global_load_dwordx4 v[0:3], v[14:15], off offset:-8
	s_nop 0
	global_load_dwordx4 v[4:7], v[16:17], off offset:-8
	v_subrev_co_u32_e32 v8, vcc, s0, v18
	v_subb_co_u32_e32 v9, vcc, v19, v9, vcc
	v_lshlrev_b64 v[8:9], 3, v[8:9]
	v_add_co_u32_e32 v14, vcc, v28, v8
	v_addc_co_u32_e32 v15, vcc, v29, v9, vcc
	global_load_dwordx2 v[16:17], v[22:23], off
	global_load_dwordx2 v[18:19], v[14:15], off
	global_load_dwordx4 v[8:11], v[20:21], off offset:-8
	s_waitcnt vmcnt(3)
	v_add_f64 v[0:1], v[0:1], v[4:5]
	v_add_f64 v[0:1], v[0:1], -v[2:3]
	s_waitcnt vmcnt(1)
	v_add_f64 v[2:3], v[16:17], v[18:19]
	s_waitcnt vmcnt(0)
	v_add_f64 v[4:5], v[10:11], v[8:9]
	v_add_f64 v[0:1], v[0:1], -v[6:7]
	v_mul_f64 v[0:1], v[0:1], v[2:3]
	v_div_scale_f64 v[2:3], s[0:1], v[4:5], v[4:5], v[0:1]
	s_load_dwordx2 s[0:1], s[4:5], 0x1b8
	v_rcp_f64_e32 v[6:7], v[2:3]
	v_fma_f64 v[8:9], -v[2:3], v[6:7], 1.0
	v_fma_f64 v[6:7], v[6:7], v[8:9], v[6:7]
	v_div_scale_f64 v[8:9], vcc, v[0:1], v[4:5], v[0:1]
	v_fma_f64 v[10:11], -v[2:3], v[6:7], 1.0
	v_fma_f64 v[6:7], v[6:7], v[10:11], v[6:7]
	v_mul_f64 v[10:11], v[8:9], v[6:7]
	v_fma_f64 v[2:3], -v[2:3], v[10:11], v[8:9]
	s_waitcnt lgkmcnt(0)
	v_mul_lo_u32 v8, s1, v26
	v_mul_lo_u32 v9, s0, v27
	v_div_fmas_f64 v[2:3], v[2:3], v[6:7], v[10:11]
	v_mad_u64_u32 v[6:7], s[0:1], s0, v26, 0
	v_mov_b32_e32 v10, s11
	v_add3_u32 v7, v7, v9, v8
	v_div_fixup_f64 v[0:1], v[2:3], v[4:5], v[0:1]
	v_add_co_u32_e32 v4, vcc, s10, v12
	v_lshlrev_b64 v[2:3], 3, v[6:7]
	v_addc_co_u32_e32 v5, vcc, v10, v13, vcc
	v_add_co_u32_e32 v2, vcc, v4, v2
	v_addc_co_u32_e32 v3, vcc, v5, v3, vcc
	global_store_dwordx2 v[2:3], v[0:1], off
.LBB3_2:
	s_endpgm
	.section	.rodata,"a",@progbits
	.p2align	6, 0x0
	.amdhsa_kernel _ZN4RAJA8internal22HipKernelLauncherFixedILi256ENS0_8LoopDataIN4camp5tupleIJNS_4SpanINS_9Iterators16numeric_iteratorIllPlEElEESA_EEENS4_IJEEENS3_9resources2v13HipEJZN8rajaperf5lcals8HYDRO_2D17runHipVariantImplILm256EEEvNSG_9VariantIDEEUlllE_EEENS0_24HipStatementListExecutorISM_NS3_4listIJNS_9statement3ForILl0ENS_6policy3hip11hip_indexerINS_17iteration_mapping6DirectELNS_23kernel_sync_requirementE0EJNS_3hip11IndexGlobalILNS_9named_dimE1ELi8ELi0EEEEEEJNSQ_ILl1ENST_ISV_LSW_0EJNSY_ILSZ_0ELi32ELi0EEEEEEJNSP_6LambdaILl0EJEEEEEEEEEEEENS0_9LoopTypesINSO_IJvvEEES1A_EEEEEEvT0_
		.amdhsa_group_segment_fixed_size 0
		.amdhsa_private_segment_fixed_size 0
		.amdhsa_kernarg_size 512
		.amdhsa_user_sgpr_count 6
		.amdhsa_user_sgpr_private_segment_buffer 1
		.amdhsa_user_sgpr_dispatch_ptr 0
		.amdhsa_user_sgpr_queue_ptr 0
		.amdhsa_user_sgpr_kernarg_segment_ptr 1
		.amdhsa_user_sgpr_dispatch_id 0
		.amdhsa_user_sgpr_flat_scratch_init 0
		.amdhsa_user_sgpr_private_segment_size 0
		.amdhsa_uses_dynamic_stack 0
		.amdhsa_system_sgpr_private_segment_wavefront_offset 0
		.amdhsa_system_sgpr_workgroup_id_x 1
		.amdhsa_system_sgpr_workgroup_id_y 1
		.amdhsa_system_sgpr_workgroup_id_z 0
		.amdhsa_system_sgpr_workgroup_info 0
		.amdhsa_system_vgpr_workitem_id 1
		.amdhsa_next_free_vgpr 30
		.amdhsa_next_free_sgpr 16
		.amdhsa_reserve_vcc 1
		.amdhsa_reserve_flat_scratch 0
		.amdhsa_float_round_mode_32 0
		.amdhsa_float_round_mode_16_64 0
		.amdhsa_float_denorm_mode_32 3
		.amdhsa_float_denorm_mode_16_64 3
		.amdhsa_dx10_clamp 1
		.amdhsa_ieee_mode 1
		.amdhsa_fp16_overflow 0
		.amdhsa_exception_fp_ieee_invalid_op 0
		.amdhsa_exception_fp_denorm_src 0
		.amdhsa_exception_fp_ieee_div_zero 0
		.amdhsa_exception_fp_ieee_overflow 0
		.amdhsa_exception_fp_ieee_underflow 0
		.amdhsa_exception_fp_ieee_inexact 0
		.amdhsa_exception_int_div_zero 0
	.end_amdhsa_kernel
	.section	.text._ZN4RAJA8internal22HipKernelLauncherFixedILi256ENS0_8LoopDataIN4camp5tupleIJNS_4SpanINS_9Iterators16numeric_iteratorIllPlEElEESA_EEENS4_IJEEENS3_9resources2v13HipEJZN8rajaperf5lcals8HYDRO_2D17runHipVariantImplILm256EEEvNSG_9VariantIDEEUlllE_EEENS0_24HipStatementListExecutorISM_NS3_4listIJNS_9statement3ForILl0ENS_6policy3hip11hip_indexerINS_17iteration_mapping6DirectELNS_23kernel_sync_requirementE0EJNS_3hip11IndexGlobalILNS_9named_dimE1ELi8ELi0EEEEEEJNSQ_ILl1ENST_ISV_LSW_0EJNSY_ILSZ_0ELi32ELi0EEEEEEJNSP_6LambdaILl0EJEEEEEEEEEEEENS0_9LoopTypesINSO_IJvvEEES1A_EEEEEEvT0_,"axG",@progbits,_ZN4RAJA8internal22HipKernelLauncherFixedILi256ENS0_8LoopDataIN4camp5tupleIJNS_4SpanINS_9Iterators16numeric_iteratorIllPlEElEESA_EEENS4_IJEEENS3_9resources2v13HipEJZN8rajaperf5lcals8HYDRO_2D17runHipVariantImplILm256EEEvNSG_9VariantIDEEUlllE_EEENS0_24HipStatementListExecutorISM_NS3_4listIJNS_9statement3ForILl0ENS_6policy3hip11hip_indexerINS_17iteration_mapping6DirectELNS_23kernel_sync_requirementE0EJNS_3hip11IndexGlobalILNS_9named_dimE1ELi8ELi0EEEEEEJNSQ_ILl1ENST_ISV_LSW_0EJNSY_ILSZ_0ELi32ELi0EEEEEEJNSP_6LambdaILl0EJEEEEEEEEEEEENS0_9LoopTypesINSO_IJvvEEES1A_EEEEEEvT0_,comdat
.Lfunc_end3:
	.size	_ZN4RAJA8internal22HipKernelLauncherFixedILi256ENS0_8LoopDataIN4camp5tupleIJNS_4SpanINS_9Iterators16numeric_iteratorIllPlEElEESA_EEENS4_IJEEENS3_9resources2v13HipEJZN8rajaperf5lcals8HYDRO_2D17runHipVariantImplILm256EEEvNSG_9VariantIDEEUlllE_EEENS0_24HipStatementListExecutorISM_NS3_4listIJNS_9statement3ForILl0ENS_6policy3hip11hip_indexerINS_17iteration_mapping6DirectELNS_23kernel_sync_requirementE0EJNS_3hip11IndexGlobalILNS_9named_dimE1ELi8ELi0EEEEEEJNSQ_ILl1ENST_ISV_LSW_0EJNSY_ILSZ_0ELi32ELi0EEEEEEJNSP_6LambdaILl0EJEEEEEEEEEEEENS0_9LoopTypesINSO_IJvvEEES1A_EEEEEEvT0_, .Lfunc_end3-_ZN4RAJA8internal22HipKernelLauncherFixedILi256ENS0_8LoopDataIN4camp5tupleIJNS_4SpanINS_9Iterators16numeric_iteratorIllPlEElEESA_EEENS4_IJEEENS3_9resources2v13HipEJZN8rajaperf5lcals8HYDRO_2D17runHipVariantImplILm256EEEvNSG_9VariantIDEEUlllE_EEENS0_24HipStatementListExecutorISM_NS3_4listIJNS_9statement3ForILl0ENS_6policy3hip11hip_indexerINS_17iteration_mapping6DirectELNS_23kernel_sync_requirementE0EJNS_3hip11IndexGlobalILNS_9named_dimE1ELi8ELi0EEEEEEJNSQ_ILl1ENST_ISV_LSW_0EJNSY_ILSZ_0ELi32ELi0EEEEEEJNSP_6LambdaILl0EJEEEEEEEEEEEENS0_9LoopTypesINSO_IJvvEEES1A_EEEEEEvT0_
                                        ; -- End function
	.set _ZN4RAJA8internal22HipKernelLauncherFixedILi256ENS0_8LoopDataIN4camp5tupleIJNS_4SpanINS_9Iterators16numeric_iteratorIllPlEElEESA_EEENS4_IJEEENS3_9resources2v13HipEJZN8rajaperf5lcals8HYDRO_2D17runHipVariantImplILm256EEEvNSG_9VariantIDEEUlllE_EEENS0_24HipStatementListExecutorISM_NS3_4listIJNS_9statement3ForILl0ENS_6policy3hip11hip_indexerINS_17iteration_mapping6DirectELNS_23kernel_sync_requirementE0EJNS_3hip11IndexGlobalILNS_9named_dimE1ELi8ELi0EEEEEEJNSQ_ILl1ENST_ISV_LSW_0EJNSY_ILSZ_0ELi32ELi0EEEEEEJNSP_6LambdaILl0EJEEEEEEEEEEEENS0_9LoopTypesINSO_IJvvEEES1A_EEEEEEvT0_.num_vgpr, 30
	.set _ZN4RAJA8internal22HipKernelLauncherFixedILi256ENS0_8LoopDataIN4camp5tupleIJNS_4SpanINS_9Iterators16numeric_iteratorIllPlEElEESA_EEENS4_IJEEENS3_9resources2v13HipEJZN8rajaperf5lcals8HYDRO_2D17runHipVariantImplILm256EEEvNSG_9VariantIDEEUlllE_EEENS0_24HipStatementListExecutorISM_NS3_4listIJNS_9statement3ForILl0ENS_6policy3hip11hip_indexerINS_17iteration_mapping6DirectELNS_23kernel_sync_requirementE0EJNS_3hip11IndexGlobalILNS_9named_dimE1ELi8ELi0EEEEEEJNSQ_ILl1ENST_ISV_LSW_0EJNSY_ILSZ_0ELi32ELi0EEEEEEJNSP_6LambdaILl0EJEEEEEEEEEEEENS0_9LoopTypesINSO_IJvvEEES1A_EEEEEEvT0_.num_agpr, 0
	.set _ZN4RAJA8internal22HipKernelLauncherFixedILi256ENS0_8LoopDataIN4camp5tupleIJNS_4SpanINS_9Iterators16numeric_iteratorIllPlEElEESA_EEENS4_IJEEENS3_9resources2v13HipEJZN8rajaperf5lcals8HYDRO_2D17runHipVariantImplILm256EEEvNSG_9VariantIDEEUlllE_EEENS0_24HipStatementListExecutorISM_NS3_4listIJNS_9statement3ForILl0ENS_6policy3hip11hip_indexerINS_17iteration_mapping6DirectELNS_23kernel_sync_requirementE0EJNS_3hip11IndexGlobalILNS_9named_dimE1ELi8ELi0EEEEEEJNSQ_ILl1ENST_ISV_LSW_0EJNSY_ILSZ_0ELi32ELi0EEEEEEJNSP_6LambdaILl0EJEEEEEEEEEEEENS0_9LoopTypesINSO_IJvvEEES1A_EEEEEEvT0_.numbered_sgpr, 16
	.set _ZN4RAJA8internal22HipKernelLauncherFixedILi256ENS0_8LoopDataIN4camp5tupleIJNS_4SpanINS_9Iterators16numeric_iteratorIllPlEElEESA_EEENS4_IJEEENS3_9resources2v13HipEJZN8rajaperf5lcals8HYDRO_2D17runHipVariantImplILm256EEEvNSG_9VariantIDEEUlllE_EEENS0_24HipStatementListExecutorISM_NS3_4listIJNS_9statement3ForILl0ENS_6policy3hip11hip_indexerINS_17iteration_mapping6DirectELNS_23kernel_sync_requirementE0EJNS_3hip11IndexGlobalILNS_9named_dimE1ELi8ELi0EEEEEEJNSQ_ILl1ENST_ISV_LSW_0EJNSY_ILSZ_0ELi32ELi0EEEEEEJNSP_6LambdaILl0EJEEEEEEEEEEEENS0_9LoopTypesINSO_IJvvEEES1A_EEEEEEvT0_.num_named_barrier, 0
	.set _ZN4RAJA8internal22HipKernelLauncherFixedILi256ENS0_8LoopDataIN4camp5tupleIJNS_4SpanINS_9Iterators16numeric_iteratorIllPlEElEESA_EEENS4_IJEEENS3_9resources2v13HipEJZN8rajaperf5lcals8HYDRO_2D17runHipVariantImplILm256EEEvNSG_9VariantIDEEUlllE_EEENS0_24HipStatementListExecutorISM_NS3_4listIJNS_9statement3ForILl0ENS_6policy3hip11hip_indexerINS_17iteration_mapping6DirectELNS_23kernel_sync_requirementE0EJNS_3hip11IndexGlobalILNS_9named_dimE1ELi8ELi0EEEEEEJNSQ_ILl1ENST_ISV_LSW_0EJNSY_ILSZ_0ELi32ELi0EEEEEEJNSP_6LambdaILl0EJEEEEEEEEEEEENS0_9LoopTypesINSO_IJvvEEES1A_EEEEEEvT0_.private_seg_size, 0
	.set _ZN4RAJA8internal22HipKernelLauncherFixedILi256ENS0_8LoopDataIN4camp5tupleIJNS_4SpanINS_9Iterators16numeric_iteratorIllPlEElEESA_EEENS4_IJEEENS3_9resources2v13HipEJZN8rajaperf5lcals8HYDRO_2D17runHipVariantImplILm256EEEvNSG_9VariantIDEEUlllE_EEENS0_24HipStatementListExecutorISM_NS3_4listIJNS_9statement3ForILl0ENS_6policy3hip11hip_indexerINS_17iteration_mapping6DirectELNS_23kernel_sync_requirementE0EJNS_3hip11IndexGlobalILNS_9named_dimE1ELi8ELi0EEEEEEJNSQ_ILl1ENST_ISV_LSW_0EJNSY_ILSZ_0ELi32ELi0EEEEEEJNSP_6LambdaILl0EJEEEEEEEEEEEENS0_9LoopTypesINSO_IJvvEEES1A_EEEEEEvT0_.uses_vcc, 1
	.set _ZN4RAJA8internal22HipKernelLauncherFixedILi256ENS0_8LoopDataIN4camp5tupleIJNS_4SpanINS_9Iterators16numeric_iteratorIllPlEElEESA_EEENS4_IJEEENS3_9resources2v13HipEJZN8rajaperf5lcals8HYDRO_2D17runHipVariantImplILm256EEEvNSG_9VariantIDEEUlllE_EEENS0_24HipStatementListExecutorISM_NS3_4listIJNS_9statement3ForILl0ENS_6policy3hip11hip_indexerINS_17iteration_mapping6DirectELNS_23kernel_sync_requirementE0EJNS_3hip11IndexGlobalILNS_9named_dimE1ELi8ELi0EEEEEEJNSQ_ILl1ENST_ISV_LSW_0EJNSY_ILSZ_0ELi32ELi0EEEEEEJNSP_6LambdaILl0EJEEEEEEEEEEEENS0_9LoopTypesINSO_IJvvEEES1A_EEEEEEvT0_.uses_flat_scratch, 0
	.set _ZN4RAJA8internal22HipKernelLauncherFixedILi256ENS0_8LoopDataIN4camp5tupleIJNS_4SpanINS_9Iterators16numeric_iteratorIllPlEElEESA_EEENS4_IJEEENS3_9resources2v13HipEJZN8rajaperf5lcals8HYDRO_2D17runHipVariantImplILm256EEEvNSG_9VariantIDEEUlllE_EEENS0_24HipStatementListExecutorISM_NS3_4listIJNS_9statement3ForILl0ENS_6policy3hip11hip_indexerINS_17iteration_mapping6DirectELNS_23kernel_sync_requirementE0EJNS_3hip11IndexGlobalILNS_9named_dimE1ELi8ELi0EEEEEEJNSQ_ILl1ENST_ISV_LSW_0EJNSY_ILSZ_0ELi32ELi0EEEEEEJNSP_6LambdaILl0EJEEEEEEEEEEEENS0_9LoopTypesINSO_IJvvEEES1A_EEEEEEvT0_.has_dyn_sized_stack, 0
	.set _ZN4RAJA8internal22HipKernelLauncherFixedILi256ENS0_8LoopDataIN4camp5tupleIJNS_4SpanINS_9Iterators16numeric_iteratorIllPlEElEESA_EEENS4_IJEEENS3_9resources2v13HipEJZN8rajaperf5lcals8HYDRO_2D17runHipVariantImplILm256EEEvNSG_9VariantIDEEUlllE_EEENS0_24HipStatementListExecutorISM_NS3_4listIJNS_9statement3ForILl0ENS_6policy3hip11hip_indexerINS_17iteration_mapping6DirectELNS_23kernel_sync_requirementE0EJNS_3hip11IndexGlobalILNS_9named_dimE1ELi8ELi0EEEEEEJNSQ_ILl1ENST_ISV_LSW_0EJNSY_ILSZ_0ELi32ELi0EEEEEEJNSP_6LambdaILl0EJEEEEEEEEEEEENS0_9LoopTypesINSO_IJvvEEES1A_EEEEEEvT0_.has_recursion, 0
	.set _ZN4RAJA8internal22HipKernelLauncherFixedILi256ENS0_8LoopDataIN4camp5tupleIJNS_4SpanINS_9Iterators16numeric_iteratorIllPlEElEESA_EEENS4_IJEEENS3_9resources2v13HipEJZN8rajaperf5lcals8HYDRO_2D17runHipVariantImplILm256EEEvNSG_9VariantIDEEUlllE_EEENS0_24HipStatementListExecutorISM_NS3_4listIJNS_9statement3ForILl0ENS_6policy3hip11hip_indexerINS_17iteration_mapping6DirectELNS_23kernel_sync_requirementE0EJNS_3hip11IndexGlobalILNS_9named_dimE1ELi8ELi0EEEEEEJNSQ_ILl1ENST_ISV_LSW_0EJNSY_ILSZ_0ELi32ELi0EEEEEEJNSP_6LambdaILl0EJEEEEEEEEEEEENS0_9LoopTypesINSO_IJvvEEES1A_EEEEEEvT0_.has_indirect_call, 0
	.section	.AMDGPU.csdata,"",@progbits
; Kernel info:
; codeLenInByte = 1124
; TotalNumSgprs: 20
; NumVgprs: 30
; ScratchSize: 0
; MemoryBound: 0
; FloatMode: 240
; IeeeMode: 1
; LDSByteSize: 0 bytes/workgroup (compile time only)
; SGPRBlocks: 2
; VGPRBlocks: 7
; NumSGPRsForWavesPerEU: 20
; NumVGPRsForWavesPerEU: 30
; Occupancy: 8
; WaveLimiterHint : 0
; COMPUTE_PGM_RSRC2:SCRATCH_EN: 0
; COMPUTE_PGM_RSRC2:USER_SGPR: 6
; COMPUTE_PGM_RSRC2:TRAP_HANDLER: 0
; COMPUTE_PGM_RSRC2:TGID_X_EN: 1
; COMPUTE_PGM_RSRC2:TGID_Y_EN: 1
; COMPUTE_PGM_RSRC2:TGID_Z_EN: 0
; COMPUTE_PGM_RSRC2:TIDIG_COMP_CNT: 1
	.section	.text._ZN4RAJA8internal22HipKernelLauncherFixedILi256ENS0_8LoopDataIN4camp5tupleIJNS_4SpanINS_9Iterators16numeric_iteratorIllPlEElEESA_EEENS4_IJEEENS3_9resources2v13HipEJZN8rajaperf5lcals8HYDRO_2D17runHipVariantImplILm256EEEvNSG_9VariantIDEEUlllE0_EEENS0_24HipStatementListExecutorISM_NS3_4listIJNS_9statement3ForILl0ENS_6policy3hip11hip_indexerINS_17iteration_mapping6DirectELNS_23kernel_sync_requirementE0EJNS_3hip11IndexGlobalILNS_9named_dimE1ELi8ELi0EEEEEEJNSQ_ILl1ENST_ISV_LSW_0EJNSY_ILSZ_0ELi32ELi0EEEEEEJNSP_6LambdaILl0EJEEEEEEEEEEEENS0_9LoopTypesINSO_IJvvEEES1A_EEEEEEvT0_,"axG",@progbits,_ZN4RAJA8internal22HipKernelLauncherFixedILi256ENS0_8LoopDataIN4camp5tupleIJNS_4SpanINS_9Iterators16numeric_iteratorIllPlEElEESA_EEENS4_IJEEENS3_9resources2v13HipEJZN8rajaperf5lcals8HYDRO_2D17runHipVariantImplILm256EEEvNSG_9VariantIDEEUlllE0_EEENS0_24HipStatementListExecutorISM_NS3_4listIJNS_9statement3ForILl0ENS_6policy3hip11hip_indexerINS_17iteration_mapping6DirectELNS_23kernel_sync_requirementE0EJNS_3hip11IndexGlobalILNS_9named_dimE1ELi8ELi0EEEEEEJNSQ_ILl1ENST_ISV_LSW_0EJNSY_ILSZ_0ELi32ELi0EEEEEEJNSP_6LambdaILl0EJEEEEEEEEEEEENS0_9LoopTypesINSO_IJvvEEES1A_EEEEEEvT0_,comdat
	.protected	_ZN4RAJA8internal22HipKernelLauncherFixedILi256ENS0_8LoopDataIN4camp5tupleIJNS_4SpanINS_9Iterators16numeric_iteratorIllPlEElEESA_EEENS4_IJEEENS3_9resources2v13HipEJZN8rajaperf5lcals8HYDRO_2D17runHipVariantImplILm256EEEvNSG_9VariantIDEEUlllE0_EEENS0_24HipStatementListExecutorISM_NS3_4listIJNS_9statement3ForILl0ENS_6policy3hip11hip_indexerINS_17iteration_mapping6DirectELNS_23kernel_sync_requirementE0EJNS_3hip11IndexGlobalILNS_9named_dimE1ELi8ELi0EEEEEEJNSQ_ILl1ENST_ISV_LSW_0EJNSY_ILSZ_0ELi32ELi0EEEEEEJNSP_6LambdaILl0EJEEEEEEEEEEEENS0_9LoopTypesINSO_IJvvEEES1A_EEEEEEvT0_ ; -- Begin function _ZN4RAJA8internal22HipKernelLauncherFixedILi256ENS0_8LoopDataIN4camp5tupleIJNS_4SpanINS_9Iterators16numeric_iteratorIllPlEElEESA_EEENS4_IJEEENS3_9resources2v13HipEJZN8rajaperf5lcals8HYDRO_2D17runHipVariantImplILm256EEEvNSG_9VariantIDEEUlllE0_EEENS0_24HipStatementListExecutorISM_NS3_4listIJNS_9statement3ForILl0ENS_6policy3hip11hip_indexerINS_17iteration_mapping6DirectELNS_23kernel_sync_requirementE0EJNS_3hip11IndexGlobalILNS_9named_dimE1ELi8ELi0EEEEEEJNSQ_ILl1ENST_ISV_LSW_0EJNSY_ILSZ_0ELi32ELi0EEEEEEJNSP_6LambdaILl0EJEEEEEEEEEEEENS0_9LoopTypesINSO_IJvvEEES1A_EEEEEEvT0_
	.globl	_ZN4RAJA8internal22HipKernelLauncherFixedILi256ENS0_8LoopDataIN4camp5tupleIJNS_4SpanINS_9Iterators16numeric_iteratorIllPlEElEESA_EEENS4_IJEEENS3_9resources2v13HipEJZN8rajaperf5lcals8HYDRO_2D17runHipVariantImplILm256EEEvNSG_9VariantIDEEUlllE0_EEENS0_24HipStatementListExecutorISM_NS3_4listIJNS_9statement3ForILl0ENS_6policy3hip11hip_indexerINS_17iteration_mapping6DirectELNS_23kernel_sync_requirementE0EJNS_3hip11IndexGlobalILNS_9named_dimE1ELi8ELi0EEEEEEJNSQ_ILl1ENST_ISV_LSW_0EJNSY_ILSZ_0ELi32ELi0EEEEEEJNSP_6LambdaILl0EJEEEEEEEEEEEENS0_9LoopTypesINSO_IJvvEEES1A_EEEEEEvT0_
	.p2align	8
	.type	_ZN4RAJA8internal22HipKernelLauncherFixedILi256ENS0_8LoopDataIN4camp5tupleIJNS_4SpanINS_9Iterators16numeric_iteratorIllPlEElEESA_EEENS4_IJEEENS3_9resources2v13HipEJZN8rajaperf5lcals8HYDRO_2D17runHipVariantImplILm256EEEvNSG_9VariantIDEEUlllE0_EEENS0_24HipStatementListExecutorISM_NS3_4listIJNS_9statement3ForILl0ENS_6policy3hip11hip_indexerINS_17iteration_mapping6DirectELNS_23kernel_sync_requirementE0EJNS_3hip11IndexGlobalILNS_9named_dimE1ELi8ELi0EEEEEEJNSQ_ILl1ENST_ISV_LSW_0EJNSY_ILSZ_0ELi32ELi0EEEEEEJNSP_6LambdaILl0EJEEEEEEEEEEEENS0_9LoopTypesINSO_IJvvEEES1A_EEEEEEvT0_,@function
_ZN4RAJA8internal22HipKernelLauncherFixedILi256ENS0_8LoopDataIN4camp5tupleIJNS_4SpanINS_9Iterators16numeric_iteratorIllPlEElEESA_EEENS4_IJEEENS3_9resources2v13HipEJZN8rajaperf5lcals8HYDRO_2D17runHipVariantImplILm256EEEvNSG_9VariantIDEEUlllE0_EEENS0_24HipStatementListExecutorISM_NS3_4listIJNS_9statement3ForILl0ENS_6policy3hip11hip_indexerINS_17iteration_mapping6DirectELNS_23kernel_sync_requirementE0EJNS_3hip11IndexGlobalILNS_9named_dimE1ELi8ELi0EEEEEEJNSQ_ILl1ENST_ISV_LSW_0EJNSY_ILSZ_0ELi32ELi0EEEEEEJNSP_6LambdaILl0EJEEEEEEEEEEEENS0_9LoopTypesINSO_IJvvEEES1A_EEEEEEvT0_: ; @_ZN4RAJA8internal22HipKernelLauncherFixedILi256ENS0_8LoopDataIN4camp5tupleIJNS_4SpanINS_9Iterators16numeric_iteratorIllPlEElEESA_EEENS4_IJEEENS3_9resources2v13HipEJZN8rajaperf5lcals8HYDRO_2D17runHipVariantImplILm256EEEvNSG_9VariantIDEEUlllE0_EEENS0_24HipStatementListExecutorISM_NS3_4listIJNS_9statement3ForILl0ENS_6policy3hip11hip_indexerINS_17iteration_mapping6DirectELNS_23kernel_sync_requirementE0EJNS_3hip11IndexGlobalILNS_9named_dimE1ELi8ELi0EEEEEEJNSQ_ILl1ENST_ISV_LSW_0EJNSY_ILSZ_0ELi32ELi0EEEEEEJNSP_6LambdaILl0EJEEEEEEEEEEEENS0_9LoopTypesINSO_IJvvEEES1A_EEEEEEvT0_
; %bb.0:
	s_load_dwordx8 s[8:15], s[4:5], 0x0
	s_mov_b32 s0, s7
	s_mov_b32 s1, 0
	;; [unrolled: 1-line block ×3, first 2 shown]
	s_waitcnt lgkmcnt(0)
	s_sub_u32 s2, s10, s8
	s_subb_u32 s3, s11, s9
	s_lshl_b64 s[10:11], s[0:1], 3
	v_mov_b32_e32 v2, s11
	v_add_co_u32_e32 v1, vcc, s10, v1
	v_addc_co_u32_e32 v2, vcc, 0, v2, vcc
	v_cmp_gt_i64_e32 vcc, s[2:3], v[1:2]
	s_sub_u32 s2, s14, s12
	s_subb_u32 s3, s15, s13
	s_lshl_b64 s[0:1], s[6:7], 5
	v_mov_b32_e32 v4, s1
	v_add_co_u32_e64 v3, s[0:1], s0, v0
	v_addc_co_u32_e64 v4, s[0:1], 0, v4, s[0:1]
	v_cmp_gt_i64_e64 s[0:1], s[2:3], v[3:4]
	s_and_b64 s[0:1], vcc, s[0:1]
	s_and_saveexec_b64 s[2:3], s[0:1]
	s_cbranch_execz .LBB4_2
; %bb.1:
	s_load_dwordx2 s[6:7], s[4:5], 0xe8
	s_load_dwordx2 s[10:11], s[4:5], 0xd0
	;; [unrolled: 1-line block ×3, first 2 shown]
	s_load_dwordx4 s[0:3], s[4:5], 0x80
	v_mov_b32_e32 v0, s9
	v_add_co_u32_e32 v20, vcc, s8, v1
	v_addc_co_u32_e32 v21, vcc, v0, v2, vcc
	v_mov_b32_e32 v1, s13
	v_add_co_u32_e32 v0, vcc, s12, v3
	s_waitcnt lgkmcnt(0)
	v_mul_lo_u32 v6, s7, v20
	v_mul_lo_u32 v7, s6, v21
	v_mad_u64_u32 v[8:9], s[8:9], s6, v20, 0
	v_addc_co_u32_e32 v1, vcc, v1, v4, vcc
	v_lshlrev_b64 v[10:11], 3, v[0:1]
	v_add3_u32 v9, v9, v7, v6
	v_mov_b32_e32 v0, s11
	v_add_co_u32_e32 v16, vcc, s10, v10
	v_mul_lo_u32 v2, s15, v20
	v_mul_lo_u32 v3, s14, v21
	v_mad_u64_u32 v[4:5], s[8:9], s14, v20, 0
	v_addc_co_u32_e32 v17, vcc, v0, v11, vcc
	v_lshlrev_b64 v[0:1], 3, v[8:9]
	v_add3_u32 v5, v5, v3, v2
	v_add_co_u32_e32 v6, vcc, v16, v0
	v_addc_co_u32_e32 v7, vcc, v17, v1, vcc
	global_load_dwordx2 v[12:13], v[6:7], off offset:8
	global_load_dwordx4 v[0:3], v[6:7], off offset:-8
	v_mov_b32_e32 v14, s3
	v_add_co_u32_e32 v6, vcc, s2, v10
	v_lshlrev_b64 v[4:5], 3, v[4:5]
	v_addc_co_u32_e32 v7, vcc, v14, v11, vcc
	v_add_co_u32_e32 v14, vcc, v6, v4
	v_addc_co_u32_e32 v15, vcc, v7, v5, vcc
	global_load_dwordx4 v[4:7], v[14:15], off offset:-8
	s_load_dwordx2 s[2:3], s[4:5], 0x130
	s_load_dwordx2 s[8:9], s[4:5], 0x118
	s_waitcnt vmcnt(1)
	v_add_f64 v[0:1], v[2:3], -v[0:1]
	v_add_f64 v[12:13], v[2:3], -v[12:13]
	s_waitcnt vmcnt(0)
	v_mul_f64 v[0:1], v[4:5], v[0:1]
	v_subrev_co_u32_e32 v4, vcc, s6, v8
	s_waitcnt lgkmcnt(0)
	v_mul_lo_u32 v8, s2, v21
	v_mov_b32_e32 v5, s7
	v_subb_co_u32_e32 v5, vcc, v9, v5, vcc
	v_add_co_u32_e32 v9, vcc, s8, v10
	v_fma_f64 v[0:1], v[6:7], v[12:13], -v[0:1]
	v_mul_lo_u32 v12, s3, v20
	v_mad_u64_u32 v[6:7], s[10:11], s2, v20, 0
	v_lshlrev_b64 v[4:5], 3, v[4:5]
	s_lshl_b64 s[6:7], s[6:7], 4
	v_add3_u32 v7, v7, v8, v12
	v_mov_b32_e32 v8, s9
	v_lshlrev_b64 v[6:7], 3, v[6:7]
	v_addc_co_u32_e32 v12, vcc, v8, v11, vcc
	v_add_co_u32_e32 v8, vcc, v9, v6
	v_addc_co_u32_e32 v9, vcc, v12, v7, vcc
	v_add_co_u32_e32 v4, vcc, v16, v4
	v_addc_co_u32_e32 v5, vcc, v17, v5, vcc
	v_mov_b32_e32 v7, s7
	v_add_co_u32_e32 v6, vcc, s6, v4
	v_addc_co_u32_e32 v7, vcc, v5, v7, vcc
	global_load_dwordx2 v[12:13], v[4:5], off
	global_load_dwordx2 v[16:17], v[6:7], off
	s_load_dwordx2 s[6:7], s[4:5], 0x50
	s_load_dwordx2 s[8:9], s[4:5], 0x38
	s_lshl_b64 s[2:3], s[2:3], 3
	s_waitcnt lgkmcnt(0)
	v_mul_lo_u32 v18, s7, v20
	v_mul_lo_u32 v19, s6, v21
	v_mad_u64_u32 v[6:7], s[6:7], s6, v20, 0
	v_add3_u32 v7, v7, v19, v18
	v_lshlrev_b64 v[6:7], 3, v[6:7]
	s_waitcnt vmcnt(1)
	v_add_f64 v[4:5], v[2:3], -v[12:13]
	s_waitcnt vmcnt(0)
	v_add_f64 v[2:3], v[2:3], -v[16:17]
	v_mov_b32_e32 v12, s9
	v_add_co_u32_e32 v16, vcc, s8, v10
	v_addc_co_u32_e32 v12, vcc, v12, v11, vcc
	v_add_co_u32_e32 v6, vcc, v16, v6
	global_load_dwordx2 v[16:17], v[8:9], off
	v_addc_co_u32_e32 v7, vcc, v12, v7, vcc
	v_mov_b32_e32 v13, s3
	v_add_co_u32_e32 v12, vcc, s2, v8
	v_addc_co_u32_e32 v13, vcc, v9, v13, vcc
	s_load_dwordx2 s[2:3], s[4:5], 0x1c0
	s_waitcnt lgkmcnt(0)
	v_mad_u64_u32 v[18:19], s[10:11], s2, v20, 0
	s_waitcnt vmcnt(0)
	v_fma_f64 v[0:1], -v[16:17], v[4:5], v[0:1]
	global_load_dwordx2 v[4:5], v[12:13], off
	global_load_dwordx2 v[16:17], v[6:7], off
	s_load_dwordx2 s[6:7], s[4:5], 0x1a8
	s_load_dwordx2 s[8:9], s[4:5], 0x178
	s_waitcnt lgkmcnt(0)
	v_add_co_u32_e32 v22, vcc, s6, v10
	s_waitcnt vmcnt(1)
	v_fma_f64 v[0:1], v[4:5], v[2:3], v[0:1]
	v_mul_lo_u32 v2, s3, v20
	v_mul_lo_u32 v3, s2, v21
	v_mov_b32_e32 v4, s7
	v_addc_co_u32_e32 v23, vcc, v4, v11, vcc
	v_add3_u32 v19, v19, v3, v2
	v_lshlrev_b64 v[2:3], 3, v[18:19]
	s_waitcnt vmcnt(0)
	v_fma_f64 v[0:1], s[0:1], v[0:1], v[16:17]
	v_add_co_u32_e32 v4, vcc, v22, v2
	v_addc_co_u32_e32 v5, vcc, v23, v3, vcc
	global_store_dwordx2 v[6:7], v[0:1], off
	global_load_dwordx2 v[6:7], v[4:5], off offset:8
	s_nop 0
	global_load_dwordx4 v[0:3], v[4:5], off offset:-8
	s_waitcnt vmcnt(0)
	v_add_f64 v[16:17], v[2:3], -v[6:7]
	global_load_dwordx4 v[4:7], v[14:15], off offset:-8
	v_add_f64 v[0:1], v[2:3], -v[0:1]
	s_waitcnt vmcnt(0)
	v_mul_f64 v[0:1], v[4:5], v[0:1]
	v_mov_b32_e32 v5, s3
	v_subrev_co_u32_e32 v4, vcc, s2, v18
	v_subb_co_u32_e32 v5, vcc, v19, v5, vcc
	v_lshlrev_b64 v[4:5], 3, v[4:5]
	s_lshl_b64 s[2:3], s[2:3], 4
	v_add_co_u32_e32 v4, vcc, v22, v4
	v_addc_co_u32_e32 v5, vcc, v23, v5, vcc
	v_fma_f64 v[0:1], v[6:7], v[16:17], -v[0:1]
	v_mov_b32_e32 v7, s3
	v_add_co_u32_e32 v6, vcc, s2, v4
	v_addc_co_u32_e32 v7, vcc, v5, v7, vcc
	global_load_dwordx2 v[4:5], v[4:5], off
	s_nop 0
	global_load_dwordx2 v[14:15], v[8:9], off
	global_load_dwordx2 v[16:17], v[6:7], off
	s_load_dwordx2 s[2:3], s[4:5], 0x160
	v_mul_lo_u32 v19, s8, v21
	global_load_dwordx2 v[8:9], v[12:13], off
	s_waitcnt lgkmcnt(0)
	v_mov_b32_e32 v18, s3
	v_add_co_u32_e32 v10, vcc, s2, v10
	v_addc_co_u32_e32 v11, vcc, v18, v11, vcc
	v_mul_lo_u32 v18, s9, v20
	v_mad_u64_u32 v[6:7], s[2:3], s8, v20, 0
	v_add3_u32 v7, v7, v19, v18
	v_lshlrev_b64 v[6:7], 3, v[6:7]
	v_add_co_u32_e32 v6, vcc, v10, v6
	v_addc_co_u32_e32 v7, vcc, v11, v7, vcc
	global_load_dwordx2 v[10:11], v[6:7], off
	s_waitcnt vmcnt(4)
	v_add_f64 v[4:5], v[2:3], -v[4:5]
	s_waitcnt vmcnt(2)
	v_add_f64 v[2:3], v[2:3], -v[16:17]
	v_fma_f64 v[0:1], -v[14:15], v[4:5], v[0:1]
	s_waitcnt vmcnt(1)
	v_fma_f64 v[0:1], v[8:9], v[2:3], v[0:1]
	s_waitcnt vmcnt(0)
	v_fma_f64 v[0:1], s[0:1], v[0:1], v[10:11]
	global_store_dwordx2 v[6:7], v[0:1], off
.LBB4_2:
	s_endpgm
	.section	.rodata,"a",@progbits
	.p2align	6, 0x0
	.amdhsa_kernel _ZN4RAJA8internal22HipKernelLauncherFixedILi256ENS0_8LoopDataIN4camp5tupleIJNS_4SpanINS_9Iterators16numeric_iteratorIllPlEElEESA_EEENS4_IJEEENS3_9resources2v13HipEJZN8rajaperf5lcals8HYDRO_2D17runHipVariantImplILm256EEEvNSG_9VariantIDEEUlllE0_EEENS0_24HipStatementListExecutorISM_NS3_4listIJNS_9statement3ForILl0ENS_6policy3hip11hip_indexerINS_17iteration_mapping6DirectELNS_23kernel_sync_requirementE0EJNS_3hip11IndexGlobalILNS_9named_dimE1ELi8ELi0EEEEEEJNSQ_ILl1ENST_ISV_LSW_0EJNSY_ILSZ_0ELi32ELi0EEEEEEJNSP_6LambdaILl0EJEEEEEEEEEEEENS0_9LoopTypesINSO_IJvvEEES1A_EEEEEEvT0_
		.amdhsa_group_segment_fixed_size 0
		.amdhsa_private_segment_fixed_size 0
		.amdhsa_kernarg_size 520
		.amdhsa_user_sgpr_count 6
		.amdhsa_user_sgpr_private_segment_buffer 1
		.amdhsa_user_sgpr_dispatch_ptr 0
		.amdhsa_user_sgpr_queue_ptr 0
		.amdhsa_user_sgpr_kernarg_segment_ptr 1
		.amdhsa_user_sgpr_dispatch_id 0
		.amdhsa_user_sgpr_flat_scratch_init 0
		.amdhsa_user_sgpr_private_segment_size 0
		.amdhsa_uses_dynamic_stack 0
		.amdhsa_system_sgpr_private_segment_wavefront_offset 0
		.amdhsa_system_sgpr_workgroup_id_x 1
		.amdhsa_system_sgpr_workgroup_id_y 1
		.amdhsa_system_sgpr_workgroup_id_z 0
		.amdhsa_system_sgpr_workgroup_info 0
		.amdhsa_system_vgpr_workitem_id 1
		.amdhsa_next_free_vgpr 24
		.amdhsa_next_free_sgpr 16
		.amdhsa_reserve_vcc 1
		.amdhsa_reserve_flat_scratch 0
		.amdhsa_float_round_mode_32 0
		.amdhsa_float_round_mode_16_64 0
		.amdhsa_float_denorm_mode_32 3
		.amdhsa_float_denorm_mode_16_64 3
		.amdhsa_dx10_clamp 1
		.amdhsa_ieee_mode 1
		.amdhsa_fp16_overflow 0
		.amdhsa_exception_fp_ieee_invalid_op 0
		.amdhsa_exception_fp_denorm_src 0
		.amdhsa_exception_fp_ieee_div_zero 0
		.amdhsa_exception_fp_ieee_overflow 0
		.amdhsa_exception_fp_ieee_underflow 0
		.amdhsa_exception_fp_ieee_inexact 0
		.amdhsa_exception_int_div_zero 0
	.end_amdhsa_kernel
	.section	.text._ZN4RAJA8internal22HipKernelLauncherFixedILi256ENS0_8LoopDataIN4camp5tupleIJNS_4SpanINS_9Iterators16numeric_iteratorIllPlEElEESA_EEENS4_IJEEENS3_9resources2v13HipEJZN8rajaperf5lcals8HYDRO_2D17runHipVariantImplILm256EEEvNSG_9VariantIDEEUlllE0_EEENS0_24HipStatementListExecutorISM_NS3_4listIJNS_9statement3ForILl0ENS_6policy3hip11hip_indexerINS_17iteration_mapping6DirectELNS_23kernel_sync_requirementE0EJNS_3hip11IndexGlobalILNS_9named_dimE1ELi8ELi0EEEEEEJNSQ_ILl1ENST_ISV_LSW_0EJNSY_ILSZ_0ELi32ELi0EEEEEEJNSP_6LambdaILl0EJEEEEEEEEEEEENS0_9LoopTypesINSO_IJvvEEES1A_EEEEEEvT0_,"axG",@progbits,_ZN4RAJA8internal22HipKernelLauncherFixedILi256ENS0_8LoopDataIN4camp5tupleIJNS_4SpanINS_9Iterators16numeric_iteratorIllPlEElEESA_EEENS4_IJEEENS3_9resources2v13HipEJZN8rajaperf5lcals8HYDRO_2D17runHipVariantImplILm256EEEvNSG_9VariantIDEEUlllE0_EEENS0_24HipStatementListExecutorISM_NS3_4listIJNS_9statement3ForILl0ENS_6policy3hip11hip_indexerINS_17iteration_mapping6DirectELNS_23kernel_sync_requirementE0EJNS_3hip11IndexGlobalILNS_9named_dimE1ELi8ELi0EEEEEEJNSQ_ILl1ENST_ISV_LSW_0EJNSY_ILSZ_0ELi32ELi0EEEEEEJNSP_6LambdaILl0EJEEEEEEEEEEEENS0_9LoopTypesINSO_IJvvEEES1A_EEEEEEvT0_,comdat
.Lfunc_end4:
	.size	_ZN4RAJA8internal22HipKernelLauncherFixedILi256ENS0_8LoopDataIN4camp5tupleIJNS_4SpanINS_9Iterators16numeric_iteratorIllPlEElEESA_EEENS4_IJEEENS3_9resources2v13HipEJZN8rajaperf5lcals8HYDRO_2D17runHipVariantImplILm256EEEvNSG_9VariantIDEEUlllE0_EEENS0_24HipStatementListExecutorISM_NS3_4listIJNS_9statement3ForILl0ENS_6policy3hip11hip_indexerINS_17iteration_mapping6DirectELNS_23kernel_sync_requirementE0EJNS_3hip11IndexGlobalILNS_9named_dimE1ELi8ELi0EEEEEEJNSQ_ILl1ENST_ISV_LSW_0EJNSY_ILSZ_0ELi32ELi0EEEEEEJNSP_6LambdaILl0EJEEEEEEEEEEEENS0_9LoopTypesINSO_IJvvEEES1A_EEEEEEvT0_, .Lfunc_end4-_ZN4RAJA8internal22HipKernelLauncherFixedILi256ENS0_8LoopDataIN4camp5tupleIJNS_4SpanINS_9Iterators16numeric_iteratorIllPlEElEESA_EEENS4_IJEEENS3_9resources2v13HipEJZN8rajaperf5lcals8HYDRO_2D17runHipVariantImplILm256EEEvNSG_9VariantIDEEUlllE0_EEENS0_24HipStatementListExecutorISM_NS3_4listIJNS_9statement3ForILl0ENS_6policy3hip11hip_indexerINS_17iteration_mapping6DirectELNS_23kernel_sync_requirementE0EJNS_3hip11IndexGlobalILNS_9named_dimE1ELi8ELi0EEEEEEJNSQ_ILl1ENST_ISV_LSW_0EJNSY_ILSZ_0ELi32ELi0EEEEEEJNSP_6LambdaILl0EJEEEEEEEEEEEENS0_9LoopTypesINSO_IJvvEEES1A_EEEEEEvT0_
                                        ; -- End function
	.set _ZN4RAJA8internal22HipKernelLauncherFixedILi256ENS0_8LoopDataIN4camp5tupleIJNS_4SpanINS_9Iterators16numeric_iteratorIllPlEElEESA_EEENS4_IJEEENS3_9resources2v13HipEJZN8rajaperf5lcals8HYDRO_2D17runHipVariantImplILm256EEEvNSG_9VariantIDEEUlllE0_EEENS0_24HipStatementListExecutorISM_NS3_4listIJNS_9statement3ForILl0ENS_6policy3hip11hip_indexerINS_17iteration_mapping6DirectELNS_23kernel_sync_requirementE0EJNS_3hip11IndexGlobalILNS_9named_dimE1ELi8ELi0EEEEEEJNSQ_ILl1ENST_ISV_LSW_0EJNSY_ILSZ_0ELi32ELi0EEEEEEJNSP_6LambdaILl0EJEEEEEEEEEEEENS0_9LoopTypesINSO_IJvvEEES1A_EEEEEEvT0_.num_vgpr, 24
	.set _ZN4RAJA8internal22HipKernelLauncherFixedILi256ENS0_8LoopDataIN4camp5tupleIJNS_4SpanINS_9Iterators16numeric_iteratorIllPlEElEESA_EEENS4_IJEEENS3_9resources2v13HipEJZN8rajaperf5lcals8HYDRO_2D17runHipVariantImplILm256EEEvNSG_9VariantIDEEUlllE0_EEENS0_24HipStatementListExecutorISM_NS3_4listIJNS_9statement3ForILl0ENS_6policy3hip11hip_indexerINS_17iteration_mapping6DirectELNS_23kernel_sync_requirementE0EJNS_3hip11IndexGlobalILNS_9named_dimE1ELi8ELi0EEEEEEJNSQ_ILl1ENST_ISV_LSW_0EJNSY_ILSZ_0ELi32ELi0EEEEEEJNSP_6LambdaILl0EJEEEEEEEEEEEENS0_9LoopTypesINSO_IJvvEEES1A_EEEEEEvT0_.num_agpr, 0
	.set _ZN4RAJA8internal22HipKernelLauncherFixedILi256ENS0_8LoopDataIN4camp5tupleIJNS_4SpanINS_9Iterators16numeric_iteratorIllPlEElEESA_EEENS4_IJEEENS3_9resources2v13HipEJZN8rajaperf5lcals8HYDRO_2D17runHipVariantImplILm256EEEvNSG_9VariantIDEEUlllE0_EEENS0_24HipStatementListExecutorISM_NS3_4listIJNS_9statement3ForILl0ENS_6policy3hip11hip_indexerINS_17iteration_mapping6DirectELNS_23kernel_sync_requirementE0EJNS_3hip11IndexGlobalILNS_9named_dimE1ELi8ELi0EEEEEEJNSQ_ILl1ENST_ISV_LSW_0EJNSY_ILSZ_0ELi32ELi0EEEEEEJNSP_6LambdaILl0EJEEEEEEEEEEEENS0_9LoopTypesINSO_IJvvEEES1A_EEEEEEvT0_.numbered_sgpr, 16
	.set _ZN4RAJA8internal22HipKernelLauncherFixedILi256ENS0_8LoopDataIN4camp5tupleIJNS_4SpanINS_9Iterators16numeric_iteratorIllPlEElEESA_EEENS4_IJEEENS3_9resources2v13HipEJZN8rajaperf5lcals8HYDRO_2D17runHipVariantImplILm256EEEvNSG_9VariantIDEEUlllE0_EEENS0_24HipStatementListExecutorISM_NS3_4listIJNS_9statement3ForILl0ENS_6policy3hip11hip_indexerINS_17iteration_mapping6DirectELNS_23kernel_sync_requirementE0EJNS_3hip11IndexGlobalILNS_9named_dimE1ELi8ELi0EEEEEEJNSQ_ILl1ENST_ISV_LSW_0EJNSY_ILSZ_0ELi32ELi0EEEEEEJNSP_6LambdaILl0EJEEEEEEEEEEEENS0_9LoopTypesINSO_IJvvEEES1A_EEEEEEvT0_.num_named_barrier, 0
	.set _ZN4RAJA8internal22HipKernelLauncherFixedILi256ENS0_8LoopDataIN4camp5tupleIJNS_4SpanINS_9Iterators16numeric_iteratorIllPlEElEESA_EEENS4_IJEEENS3_9resources2v13HipEJZN8rajaperf5lcals8HYDRO_2D17runHipVariantImplILm256EEEvNSG_9VariantIDEEUlllE0_EEENS0_24HipStatementListExecutorISM_NS3_4listIJNS_9statement3ForILl0ENS_6policy3hip11hip_indexerINS_17iteration_mapping6DirectELNS_23kernel_sync_requirementE0EJNS_3hip11IndexGlobalILNS_9named_dimE1ELi8ELi0EEEEEEJNSQ_ILl1ENST_ISV_LSW_0EJNSY_ILSZ_0ELi32ELi0EEEEEEJNSP_6LambdaILl0EJEEEEEEEEEEEENS0_9LoopTypesINSO_IJvvEEES1A_EEEEEEvT0_.private_seg_size, 0
	.set _ZN4RAJA8internal22HipKernelLauncherFixedILi256ENS0_8LoopDataIN4camp5tupleIJNS_4SpanINS_9Iterators16numeric_iteratorIllPlEElEESA_EEENS4_IJEEENS3_9resources2v13HipEJZN8rajaperf5lcals8HYDRO_2D17runHipVariantImplILm256EEEvNSG_9VariantIDEEUlllE0_EEENS0_24HipStatementListExecutorISM_NS3_4listIJNS_9statement3ForILl0ENS_6policy3hip11hip_indexerINS_17iteration_mapping6DirectELNS_23kernel_sync_requirementE0EJNS_3hip11IndexGlobalILNS_9named_dimE1ELi8ELi0EEEEEEJNSQ_ILl1ENST_ISV_LSW_0EJNSY_ILSZ_0ELi32ELi0EEEEEEJNSP_6LambdaILl0EJEEEEEEEEEEEENS0_9LoopTypesINSO_IJvvEEES1A_EEEEEEvT0_.uses_vcc, 1
	.set _ZN4RAJA8internal22HipKernelLauncherFixedILi256ENS0_8LoopDataIN4camp5tupleIJNS_4SpanINS_9Iterators16numeric_iteratorIllPlEElEESA_EEENS4_IJEEENS3_9resources2v13HipEJZN8rajaperf5lcals8HYDRO_2D17runHipVariantImplILm256EEEvNSG_9VariantIDEEUlllE0_EEENS0_24HipStatementListExecutorISM_NS3_4listIJNS_9statement3ForILl0ENS_6policy3hip11hip_indexerINS_17iteration_mapping6DirectELNS_23kernel_sync_requirementE0EJNS_3hip11IndexGlobalILNS_9named_dimE1ELi8ELi0EEEEEEJNSQ_ILl1ENST_ISV_LSW_0EJNSY_ILSZ_0ELi32ELi0EEEEEEJNSP_6LambdaILl0EJEEEEEEEEEEEENS0_9LoopTypesINSO_IJvvEEES1A_EEEEEEvT0_.uses_flat_scratch, 0
	.set _ZN4RAJA8internal22HipKernelLauncherFixedILi256ENS0_8LoopDataIN4camp5tupleIJNS_4SpanINS_9Iterators16numeric_iteratorIllPlEElEESA_EEENS4_IJEEENS3_9resources2v13HipEJZN8rajaperf5lcals8HYDRO_2D17runHipVariantImplILm256EEEvNSG_9VariantIDEEUlllE0_EEENS0_24HipStatementListExecutorISM_NS3_4listIJNS_9statement3ForILl0ENS_6policy3hip11hip_indexerINS_17iteration_mapping6DirectELNS_23kernel_sync_requirementE0EJNS_3hip11IndexGlobalILNS_9named_dimE1ELi8ELi0EEEEEEJNSQ_ILl1ENST_ISV_LSW_0EJNSY_ILSZ_0ELi32ELi0EEEEEEJNSP_6LambdaILl0EJEEEEEEEEEEEENS0_9LoopTypesINSO_IJvvEEES1A_EEEEEEvT0_.has_dyn_sized_stack, 0
	.set _ZN4RAJA8internal22HipKernelLauncherFixedILi256ENS0_8LoopDataIN4camp5tupleIJNS_4SpanINS_9Iterators16numeric_iteratorIllPlEElEESA_EEENS4_IJEEENS3_9resources2v13HipEJZN8rajaperf5lcals8HYDRO_2D17runHipVariantImplILm256EEEvNSG_9VariantIDEEUlllE0_EEENS0_24HipStatementListExecutorISM_NS3_4listIJNS_9statement3ForILl0ENS_6policy3hip11hip_indexerINS_17iteration_mapping6DirectELNS_23kernel_sync_requirementE0EJNS_3hip11IndexGlobalILNS_9named_dimE1ELi8ELi0EEEEEEJNSQ_ILl1ENST_ISV_LSW_0EJNSY_ILSZ_0ELi32ELi0EEEEEEJNSP_6LambdaILl0EJEEEEEEEEEEEENS0_9LoopTypesINSO_IJvvEEES1A_EEEEEEvT0_.has_recursion, 0
	.set _ZN4RAJA8internal22HipKernelLauncherFixedILi256ENS0_8LoopDataIN4camp5tupleIJNS_4SpanINS_9Iterators16numeric_iteratorIllPlEElEESA_EEENS4_IJEEENS3_9resources2v13HipEJZN8rajaperf5lcals8HYDRO_2D17runHipVariantImplILm256EEEvNSG_9VariantIDEEUlllE0_EEENS0_24HipStatementListExecutorISM_NS3_4listIJNS_9statement3ForILl0ENS_6policy3hip11hip_indexerINS_17iteration_mapping6DirectELNS_23kernel_sync_requirementE0EJNS_3hip11IndexGlobalILNS_9named_dimE1ELi8ELi0EEEEEEJNSQ_ILl1ENST_ISV_LSW_0EJNSY_ILSZ_0ELi32ELi0EEEEEEJNSP_6LambdaILl0EJEEEEEEEEEEEENS0_9LoopTypesINSO_IJvvEEES1A_EEEEEEvT0_.has_indirect_call, 0
	.section	.AMDGPU.csdata,"",@progbits
; Kernel info:
; codeLenInByte = 1072
; TotalNumSgprs: 20
; NumVgprs: 24
; ScratchSize: 0
; MemoryBound: 0
; FloatMode: 240
; IeeeMode: 1
; LDSByteSize: 0 bytes/workgroup (compile time only)
; SGPRBlocks: 2
; VGPRBlocks: 5
; NumSGPRsForWavesPerEU: 20
; NumVGPRsForWavesPerEU: 24
; Occupancy: 10
; WaveLimiterHint : 0
; COMPUTE_PGM_RSRC2:SCRATCH_EN: 0
; COMPUTE_PGM_RSRC2:USER_SGPR: 6
; COMPUTE_PGM_RSRC2:TRAP_HANDLER: 0
; COMPUTE_PGM_RSRC2:TGID_X_EN: 1
; COMPUTE_PGM_RSRC2:TGID_Y_EN: 1
; COMPUTE_PGM_RSRC2:TGID_Z_EN: 0
; COMPUTE_PGM_RSRC2:TIDIG_COMP_CNT: 1
	.section	.text._ZN4RAJA8internal22HipKernelLauncherFixedILi256ENS0_8LoopDataIN4camp5tupleIJNS_4SpanINS_9Iterators16numeric_iteratorIllPlEElEESA_EEENS4_IJEEENS3_9resources2v13HipEJZN8rajaperf5lcals8HYDRO_2D17runHipVariantImplILm256EEEvNSG_9VariantIDEEUlllE1_EEENS0_24HipStatementListExecutorISM_NS3_4listIJNS_9statement3ForILl0ENS_6policy3hip11hip_indexerINS_17iteration_mapping6DirectELNS_23kernel_sync_requirementE0EJNS_3hip11IndexGlobalILNS_9named_dimE1ELi8ELi0EEEEEEJNSQ_ILl1ENST_ISV_LSW_0EJNSY_ILSZ_0ELi32ELi0EEEEEEJNSP_6LambdaILl0EJEEEEEEEEEEEENS0_9LoopTypesINSO_IJvvEEES1A_EEEEEEvT0_,"axG",@progbits,_ZN4RAJA8internal22HipKernelLauncherFixedILi256ENS0_8LoopDataIN4camp5tupleIJNS_4SpanINS_9Iterators16numeric_iteratorIllPlEElEESA_EEENS4_IJEEENS3_9resources2v13HipEJZN8rajaperf5lcals8HYDRO_2D17runHipVariantImplILm256EEEvNSG_9VariantIDEEUlllE1_EEENS0_24HipStatementListExecutorISM_NS3_4listIJNS_9statement3ForILl0ENS_6policy3hip11hip_indexerINS_17iteration_mapping6DirectELNS_23kernel_sync_requirementE0EJNS_3hip11IndexGlobalILNS_9named_dimE1ELi8ELi0EEEEEEJNSQ_ILl1ENST_ISV_LSW_0EJNSY_ILSZ_0ELi32ELi0EEEEEEJNSP_6LambdaILl0EJEEEEEEEEEEEENS0_9LoopTypesINSO_IJvvEEES1A_EEEEEEvT0_,comdat
	.protected	_ZN4RAJA8internal22HipKernelLauncherFixedILi256ENS0_8LoopDataIN4camp5tupleIJNS_4SpanINS_9Iterators16numeric_iteratorIllPlEElEESA_EEENS4_IJEEENS3_9resources2v13HipEJZN8rajaperf5lcals8HYDRO_2D17runHipVariantImplILm256EEEvNSG_9VariantIDEEUlllE1_EEENS0_24HipStatementListExecutorISM_NS3_4listIJNS_9statement3ForILl0ENS_6policy3hip11hip_indexerINS_17iteration_mapping6DirectELNS_23kernel_sync_requirementE0EJNS_3hip11IndexGlobalILNS_9named_dimE1ELi8ELi0EEEEEEJNSQ_ILl1ENST_ISV_LSW_0EJNSY_ILSZ_0ELi32ELi0EEEEEEJNSP_6LambdaILl0EJEEEEEEEEEEEENS0_9LoopTypesINSO_IJvvEEES1A_EEEEEEvT0_ ; -- Begin function _ZN4RAJA8internal22HipKernelLauncherFixedILi256ENS0_8LoopDataIN4camp5tupleIJNS_4SpanINS_9Iterators16numeric_iteratorIllPlEElEESA_EEENS4_IJEEENS3_9resources2v13HipEJZN8rajaperf5lcals8HYDRO_2D17runHipVariantImplILm256EEEvNSG_9VariantIDEEUlllE1_EEENS0_24HipStatementListExecutorISM_NS3_4listIJNS_9statement3ForILl0ENS_6policy3hip11hip_indexerINS_17iteration_mapping6DirectELNS_23kernel_sync_requirementE0EJNS_3hip11IndexGlobalILNS_9named_dimE1ELi8ELi0EEEEEEJNSQ_ILl1ENST_ISV_LSW_0EJNSY_ILSZ_0ELi32ELi0EEEEEEJNSP_6LambdaILl0EJEEEEEEEEEEEENS0_9LoopTypesINSO_IJvvEEES1A_EEEEEEvT0_
	.globl	_ZN4RAJA8internal22HipKernelLauncherFixedILi256ENS0_8LoopDataIN4camp5tupleIJNS_4SpanINS_9Iterators16numeric_iteratorIllPlEElEESA_EEENS4_IJEEENS3_9resources2v13HipEJZN8rajaperf5lcals8HYDRO_2D17runHipVariantImplILm256EEEvNSG_9VariantIDEEUlllE1_EEENS0_24HipStatementListExecutorISM_NS3_4listIJNS_9statement3ForILl0ENS_6policy3hip11hip_indexerINS_17iteration_mapping6DirectELNS_23kernel_sync_requirementE0EJNS_3hip11IndexGlobalILNS_9named_dimE1ELi8ELi0EEEEEEJNSQ_ILl1ENST_ISV_LSW_0EJNSY_ILSZ_0ELi32ELi0EEEEEEJNSP_6LambdaILl0EJEEEEEEEEEEEENS0_9LoopTypesINSO_IJvvEEES1A_EEEEEEvT0_
	.p2align	8
	.type	_ZN4RAJA8internal22HipKernelLauncherFixedILi256ENS0_8LoopDataIN4camp5tupleIJNS_4SpanINS_9Iterators16numeric_iteratorIllPlEElEESA_EEENS4_IJEEENS3_9resources2v13HipEJZN8rajaperf5lcals8HYDRO_2D17runHipVariantImplILm256EEEvNSG_9VariantIDEEUlllE1_EEENS0_24HipStatementListExecutorISM_NS3_4listIJNS_9statement3ForILl0ENS_6policy3hip11hip_indexerINS_17iteration_mapping6DirectELNS_23kernel_sync_requirementE0EJNS_3hip11IndexGlobalILNS_9named_dimE1ELi8ELi0EEEEEEJNSQ_ILl1ENST_ISV_LSW_0EJNSY_ILSZ_0ELi32ELi0EEEEEEJNSP_6LambdaILl0EJEEEEEEEEEEEENS0_9LoopTypesINSO_IJvvEEES1A_EEEEEEvT0_,@function
_ZN4RAJA8internal22HipKernelLauncherFixedILi256ENS0_8LoopDataIN4camp5tupleIJNS_4SpanINS_9Iterators16numeric_iteratorIllPlEElEESA_EEENS4_IJEEENS3_9resources2v13HipEJZN8rajaperf5lcals8HYDRO_2D17runHipVariantImplILm256EEEvNSG_9VariantIDEEUlllE1_EEENS0_24HipStatementListExecutorISM_NS3_4listIJNS_9statement3ForILl0ENS_6policy3hip11hip_indexerINS_17iteration_mapping6DirectELNS_23kernel_sync_requirementE0EJNS_3hip11IndexGlobalILNS_9named_dimE1ELi8ELi0EEEEEEJNSQ_ILl1ENST_ISV_LSW_0EJNSY_ILSZ_0ELi32ELi0EEEEEEJNSP_6LambdaILl0EJEEEEEEEEEEEENS0_9LoopTypesINSO_IJvvEEES1A_EEEEEEvT0_: ; @_ZN4RAJA8internal22HipKernelLauncherFixedILi256ENS0_8LoopDataIN4camp5tupleIJNS_4SpanINS_9Iterators16numeric_iteratorIllPlEElEESA_EEENS4_IJEEENS3_9resources2v13HipEJZN8rajaperf5lcals8HYDRO_2D17runHipVariantImplILm256EEEvNSG_9VariantIDEEUlllE1_EEENS0_24HipStatementListExecutorISM_NS3_4listIJNS_9statement3ForILl0ENS_6policy3hip11hip_indexerINS_17iteration_mapping6DirectELNS_23kernel_sync_requirementE0EJNS_3hip11IndexGlobalILNS_9named_dimE1ELi8ELi0EEEEEEJNSQ_ILl1ENST_ISV_LSW_0EJNSY_ILSZ_0ELi32ELi0EEEEEEJNSP_6LambdaILl0EJEEEEEEEEEEEENS0_9LoopTypesINSO_IJvvEEES1A_EEEEEEvT0_
; %bb.0:
	s_load_dwordx8 s[8:15], s[4:5], 0x0
	s_mov_b32 s0, s7
	s_mov_b32 s1, 0
	;; [unrolled: 1-line block ×3, first 2 shown]
	s_waitcnt lgkmcnt(0)
	s_sub_u32 s2, s10, s8
	s_subb_u32 s3, s11, s9
	s_lshl_b64 s[10:11], s[0:1], 3
	v_mov_b32_e32 v2, s11
	v_add_co_u32_e32 v1, vcc, s10, v1
	v_addc_co_u32_e32 v2, vcc, 0, v2, vcc
	v_cmp_gt_i64_e32 vcc, s[2:3], v[1:2]
	s_sub_u32 s2, s14, s12
	s_subb_u32 s3, s15, s13
	s_lshl_b64 s[0:1], s[6:7], 5
	v_mov_b32_e32 v4, s1
	v_add_co_u32_e64 v3, s[0:1], s0, v0
	v_addc_co_u32_e64 v4, s[0:1], 0, v4, s[0:1]
	v_cmp_gt_i64_e64 s[0:1], s[2:3], v[3:4]
	s_and_b64 s[0:1], vcc, s[0:1]
	s_and_saveexec_b64 s[2:3], s[0:1]
	s_cbranch_execz .LBB5_2
; %bb.1:
	s_load_dwordx2 s[6:7], s[4:5], 0xe8
	s_load_dwordx4 s[0:3], s[4:5], 0xc8
	s_load_dwordx2 s[10:11], s[4:5], 0x98
	s_load_dwordx2 s[14:15], s[4:5], 0x80
	;; [unrolled: 1-line block ×3, first 2 shown]
	v_mov_b32_e32 v0, s9
	v_add_co_u32_e32 v12, vcc, s8, v1
	v_addc_co_u32_e32 v13, vcc, v0, v2, vcc
	v_mov_b32_e32 v5, s13
	s_waitcnt lgkmcnt(0)
	v_mul_lo_u32 v6, s11, v12
	v_mul_lo_u32 v7, s10, v13
	v_mad_u64_u32 v[0:1], s[8:9], s10, v12, 0
	v_add_co_u32_e32 v2, vcc, s12, v3
	v_addc_co_u32_e32 v3, vcc, v5, v4, vcc
	v_lshlrev_b64 v[2:3], 3, v[2:3]
	v_add3_u32 v1, v1, v7, v6
	v_mov_b32_e32 v4, s15
	v_add_co_u32_e32 v6, vcc, s14, v2
	v_addc_co_u32_e32 v7, vcc, v4, v3, vcc
	v_mul_lo_u32 v8, s7, v12
	v_mul_lo_u32 v9, s6, v13
	v_mad_u64_u32 v[4:5], s[6:7], s6, v12, 0
	v_lshlrev_b64 v[0:1], 3, v[0:1]
	v_mul_lo_u32 v10, s17, v12
	v_add_co_u32_e32 v0, vcc, v6, v0
	v_addc_co_u32_e32 v1, vcc, v7, v1, vcc
	v_add3_u32 v5, v5, v9, v8
	v_mov_b32_e32 v6, s3
	v_add_co_u32_e32 v7, vcc, s2, v2
	v_lshlrev_b64 v[4:5], 3, v[4:5]
	v_addc_co_u32_e32 v6, vcc, v6, v3, vcc
	v_add_co_u32_e32 v4, vcc, v7, v4
	v_addc_co_u32_e32 v5, vcc, v6, v5, vcc
	global_load_dwordx2 v[0:1], v[0:1], off
	v_mul_lo_u32 v11, s16, v13
	global_load_dwordx2 v[4:5], v[4:5], off
	v_mad_u64_u32 v[6:7], s[16:17], s16, v12, 0
	s_load_dwordx2 s[2:3], s[4:5], 0x38
	s_load_dwordx2 s[6:7], s[4:5], 0x1c0
	;; [unrolled: 1-line block ×6, first 2 shown]
	s_waitcnt lgkmcnt(0)
	v_mov_b32_e32 v14, s3
	v_add3_u32 v7, v7, v11, v10
	v_mul_lo_u32 v15, s11, v12
	v_mul_lo_u32 v16, s10, v13
	v_mad_u64_u32 v[8:9], s[10:11], s10, v12, 0
	v_add_co_u32_e32 v10, vcc, s2, v2
	v_lshlrev_b64 v[6:7], 3, v[6:7]
	v_addc_co_u32_e32 v11, vcc, v14, v3, vcc
	v_add_co_u32_e32 v6, vcc, v10, v6
	v_mul_lo_u32 v18, s7, v12
	v_mul_lo_u32 v19, s6, v13
	v_addc_co_u32_e32 v7, vcc, v11, v7, vcc
	v_mad_u64_u32 v[10:11], s[2:3], s6, v12, 0
	v_mov_b32_e32 v17, s13
	v_add3_u32 v9, v9, v16, v15
	v_add_co_u32_e32 v15, vcc, s12, v2
	v_addc_co_u32_e32 v16, vcc, v17, v3, vcc
	v_mov_b32_e32 v14, s9
	v_add_co_u32_e32 v17, vcc, s8, v2
	v_lshlrev_b64 v[8:9], 3, v[8:9]
	v_addc_co_u32_e32 v14, vcc, v14, v3, vcc
	v_add3_u32 v11, v11, v19, v18
	v_lshlrev_b64 v[10:11], 3, v[10:11]
	s_load_dwordx2 s[2:3], s[4:5], 0x118
	s_waitcnt vmcnt(0)
	v_fma_f64 v[0:1], s[0:1], v[4:5], v[0:1]
	v_add_co_u32_e32 v4, vcc, v15, v8
	v_addc_co_u32_e32 v5, vcc, v16, v9, vcc
	v_add_co_u32_e32 v8, vcc, v17, v10
	v_addc_co_u32_e32 v9, vcc, v14, v11, vcc
	global_store_dwordx2 v[6:7], v[0:1], off
	global_load_dwordx2 v[0:1], v[4:5], off
	s_nop 0
	global_load_dwordx2 v[6:7], v[8:9], off
	v_mul_lo_u32 v8, s15, v12
	v_mul_lo_u32 v9, s14, v13
	v_mad_u64_u32 v[4:5], s[4:5], s14, v12, 0
	s_waitcnt lgkmcnt(0)
	v_mov_b32_e32 v10, s3
	v_add3_u32 v5, v5, v9, v8
	s_waitcnt vmcnt(0)
	v_fma_f64 v[0:1], s[0:1], v[6:7], v[0:1]
	v_add_co_u32_e32 v6, vcc, s2, v2
	v_addc_co_u32_e32 v7, vcc, v10, v3, vcc
	v_lshlrev_b64 v[2:3], 3, v[4:5]
	v_add_co_u32_e32 v2, vcc, v6, v2
	v_addc_co_u32_e32 v3, vcc, v7, v3, vcc
	global_store_dwordx2 v[2:3], v[0:1], off
.LBB5_2:
	s_endpgm
	.section	.rodata,"a",@progbits
	.p2align	6, 0x0
	.amdhsa_kernel _ZN4RAJA8internal22HipKernelLauncherFixedILi256ENS0_8LoopDataIN4camp5tupleIJNS_4SpanINS_9Iterators16numeric_iteratorIllPlEElEESA_EEENS4_IJEEENS3_9resources2v13HipEJZN8rajaperf5lcals8HYDRO_2D17runHipVariantImplILm256EEEvNSG_9VariantIDEEUlllE1_EEENS0_24HipStatementListExecutorISM_NS3_4listIJNS_9statement3ForILl0ENS_6policy3hip11hip_indexerINS_17iteration_mapping6DirectELNS_23kernel_sync_requirementE0EJNS_3hip11IndexGlobalILNS_9named_dimE1ELi8ELi0EEEEEEJNSQ_ILl1ENST_ISV_LSW_0EJNSY_ILSZ_0ELi32ELi0EEEEEEJNSP_6LambdaILl0EJEEEEEEEEEEEENS0_9LoopTypesINSO_IJvvEEES1A_EEEEEEvT0_
		.amdhsa_group_segment_fixed_size 0
		.amdhsa_private_segment_fixed_size 0
		.amdhsa_kernarg_size 520
		.amdhsa_user_sgpr_count 6
		.amdhsa_user_sgpr_private_segment_buffer 1
		.amdhsa_user_sgpr_dispatch_ptr 0
		.amdhsa_user_sgpr_queue_ptr 0
		.amdhsa_user_sgpr_kernarg_segment_ptr 1
		.amdhsa_user_sgpr_dispatch_id 0
		.amdhsa_user_sgpr_flat_scratch_init 0
		.amdhsa_user_sgpr_private_segment_size 0
		.amdhsa_uses_dynamic_stack 0
		.amdhsa_system_sgpr_private_segment_wavefront_offset 0
		.amdhsa_system_sgpr_workgroup_id_x 1
		.amdhsa_system_sgpr_workgroup_id_y 1
		.amdhsa_system_sgpr_workgroup_id_z 0
		.amdhsa_system_sgpr_workgroup_info 0
		.amdhsa_system_vgpr_workitem_id 1
		.amdhsa_next_free_vgpr 20
		.amdhsa_next_free_sgpr 18
		.amdhsa_reserve_vcc 1
		.amdhsa_reserve_flat_scratch 0
		.amdhsa_float_round_mode_32 0
		.amdhsa_float_round_mode_16_64 0
		.amdhsa_float_denorm_mode_32 3
		.amdhsa_float_denorm_mode_16_64 3
		.amdhsa_dx10_clamp 1
		.amdhsa_ieee_mode 1
		.amdhsa_fp16_overflow 0
		.amdhsa_exception_fp_ieee_invalid_op 0
		.amdhsa_exception_fp_denorm_src 0
		.amdhsa_exception_fp_ieee_div_zero 0
		.amdhsa_exception_fp_ieee_overflow 0
		.amdhsa_exception_fp_ieee_underflow 0
		.amdhsa_exception_fp_ieee_inexact 0
		.amdhsa_exception_int_div_zero 0
	.end_amdhsa_kernel
	.section	.text._ZN4RAJA8internal22HipKernelLauncherFixedILi256ENS0_8LoopDataIN4camp5tupleIJNS_4SpanINS_9Iterators16numeric_iteratorIllPlEElEESA_EEENS4_IJEEENS3_9resources2v13HipEJZN8rajaperf5lcals8HYDRO_2D17runHipVariantImplILm256EEEvNSG_9VariantIDEEUlllE1_EEENS0_24HipStatementListExecutorISM_NS3_4listIJNS_9statement3ForILl0ENS_6policy3hip11hip_indexerINS_17iteration_mapping6DirectELNS_23kernel_sync_requirementE0EJNS_3hip11IndexGlobalILNS_9named_dimE1ELi8ELi0EEEEEEJNSQ_ILl1ENST_ISV_LSW_0EJNSY_ILSZ_0ELi32ELi0EEEEEEJNSP_6LambdaILl0EJEEEEEEEEEEEENS0_9LoopTypesINSO_IJvvEEES1A_EEEEEEvT0_,"axG",@progbits,_ZN4RAJA8internal22HipKernelLauncherFixedILi256ENS0_8LoopDataIN4camp5tupleIJNS_4SpanINS_9Iterators16numeric_iteratorIllPlEElEESA_EEENS4_IJEEENS3_9resources2v13HipEJZN8rajaperf5lcals8HYDRO_2D17runHipVariantImplILm256EEEvNSG_9VariantIDEEUlllE1_EEENS0_24HipStatementListExecutorISM_NS3_4listIJNS_9statement3ForILl0ENS_6policy3hip11hip_indexerINS_17iteration_mapping6DirectELNS_23kernel_sync_requirementE0EJNS_3hip11IndexGlobalILNS_9named_dimE1ELi8ELi0EEEEEEJNSQ_ILl1ENST_ISV_LSW_0EJNSY_ILSZ_0ELi32ELi0EEEEEEJNSP_6LambdaILl0EJEEEEEEEEEEEENS0_9LoopTypesINSO_IJvvEEES1A_EEEEEEvT0_,comdat
.Lfunc_end5:
	.size	_ZN4RAJA8internal22HipKernelLauncherFixedILi256ENS0_8LoopDataIN4camp5tupleIJNS_4SpanINS_9Iterators16numeric_iteratorIllPlEElEESA_EEENS4_IJEEENS3_9resources2v13HipEJZN8rajaperf5lcals8HYDRO_2D17runHipVariantImplILm256EEEvNSG_9VariantIDEEUlllE1_EEENS0_24HipStatementListExecutorISM_NS3_4listIJNS_9statement3ForILl0ENS_6policy3hip11hip_indexerINS_17iteration_mapping6DirectELNS_23kernel_sync_requirementE0EJNS_3hip11IndexGlobalILNS_9named_dimE1ELi8ELi0EEEEEEJNSQ_ILl1ENST_ISV_LSW_0EJNSY_ILSZ_0ELi32ELi0EEEEEEJNSP_6LambdaILl0EJEEEEEEEEEEEENS0_9LoopTypesINSO_IJvvEEES1A_EEEEEEvT0_, .Lfunc_end5-_ZN4RAJA8internal22HipKernelLauncherFixedILi256ENS0_8LoopDataIN4camp5tupleIJNS_4SpanINS_9Iterators16numeric_iteratorIllPlEElEESA_EEENS4_IJEEENS3_9resources2v13HipEJZN8rajaperf5lcals8HYDRO_2D17runHipVariantImplILm256EEEvNSG_9VariantIDEEUlllE1_EEENS0_24HipStatementListExecutorISM_NS3_4listIJNS_9statement3ForILl0ENS_6policy3hip11hip_indexerINS_17iteration_mapping6DirectELNS_23kernel_sync_requirementE0EJNS_3hip11IndexGlobalILNS_9named_dimE1ELi8ELi0EEEEEEJNSQ_ILl1ENST_ISV_LSW_0EJNSY_ILSZ_0ELi32ELi0EEEEEEJNSP_6LambdaILl0EJEEEEEEEEEEEENS0_9LoopTypesINSO_IJvvEEES1A_EEEEEEvT0_
                                        ; -- End function
	.set _ZN4RAJA8internal22HipKernelLauncherFixedILi256ENS0_8LoopDataIN4camp5tupleIJNS_4SpanINS_9Iterators16numeric_iteratorIllPlEElEESA_EEENS4_IJEEENS3_9resources2v13HipEJZN8rajaperf5lcals8HYDRO_2D17runHipVariantImplILm256EEEvNSG_9VariantIDEEUlllE1_EEENS0_24HipStatementListExecutorISM_NS3_4listIJNS_9statement3ForILl0ENS_6policy3hip11hip_indexerINS_17iteration_mapping6DirectELNS_23kernel_sync_requirementE0EJNS_3hip11IndexGlobalILNS_9named_dimE1ELi8ELi0EEEEEEJNSQ_ILl1ENST_ISV_LSW_0EJNSY_ILSZ_0ELi32ELi0EEEEEEJNSP_6LambdaILl0EJEEEEEEEEEEEENS0_9LoopTypesINSO_IJvvEEES1A_EEEEEEvT0_.num_vgpr, 20
	.set _ZN4RAJA8internal22HipKernelLauncherFixedILi256ENS0_8LoopDataIN4camp5tupleIJNS_4SpanINS_9Iterators16numeric_iteratorIllPlEElEESA_EEENS4_IJEEENS3_9resources2v13HipEJZN8rajaperf5lcals8HYDRO_2D17runHipVariantImplILm256EEEvNSG_9VariantIDEEUlllE1_EEENS0_24HipStatementListExecutorISM_NS3_4listIJNS_9statement3ForILl0ENS_6policy3hip11hip_indexerINS_17iteration_mapping6DirectELNS_23kernel_sync_requirementE0EJNS_3hip11IndexGlobalILNS_9named_dimE1ELi8ELi0EEEEEEJNSQ_ILl1ENST_ISV_LSW_0EJNSY_ILSZ_0ELi32ELi0EEEEEEJNSP_6LambdaILl0EJEEEEEEEEEEEENS0_9LoopTypesINSO_IJvvEEES1A_EEEEEEvT0_.num_agpr, 0
	.set _ZN4RAJA8internal22HipKernelLauncherFixedILi256ENS0_8LoopDataIN4camp5tupleIJNS_4SpanINS_9Iterators16numeric_iteratorIllPlEElEESA_EEENS4_IJEEENS3_9resources2v13HipEJZN8rajaperf5lcals8HYDRO_2D17runHipVariantImplILm256EEEvNSG_9VariantIDEEUlllE1_EEENS0_24HipStatementListExecutorISM_NS3_4listIJNS_9statement3ForILl0ENS_6policy3hip11hip_indexerINS_17iteration_mapping6DirectELNS_23kernel_sync_requirementE0EJNS_3hip11IndexGlobalILNS_9named_dimE1ELi8ELi0EEEEEEJNSQ_ILl1ENST_ISV_LSW_0EJNSY_ILSZ_0ELi32ELi0EEEEEEJNSP_6LambdaILl0EJEEEEEEEEEEEENS0_9LoopTypesINSO_IJvvEEES1A_EEEEEEvT0_.numbered_sgpr, 18
	.set _ZN4RAJA8internal22HipKernelLauncherFixedILi256ENS0_8LoopDataIN4camp5tupleIJNS_4SpanINS_9Iterators16numeric_iteratorIllPlEElEESA_EEENS4_IJEEENS3_9resources2v13HipEJZN8rajaperf5lcals8HYDRO_2D17runHipVariantImplILm256EEEvNSG_9VariantIDEEUlllE1_EEENS0_24HipStatementListExecutorISM_NS3_4listIJNS_9statement3ForILl0ENS_6policy3hip11hip_indexerINS_17iteration_mapping6DirectELNS_23kernel_sync_requirementE0EJNS_3hip11IndexGlobalILNS_9named_dimE1ELi8ELi0EEEEEEJNSQ_ILl1ENST_ISV_LSW_0EJNSY_ILSZ_0ELi32ELi0EEEEEEJNSP_6LambdaILl0EJEEEEEEEEEEEENS0_9LoopTypesINSO_IJvvEEES1A_EEEEEEvT0_.num_named_barrier, 0
	.set _ZN4RAJA8internal22HipKernelLauncherFixedILi256ENS0_8LoopDataIN4camp5tupleIJNS_4SpanINS_9Iterators16numeric_iteratorIllPlEElEESA_EEENS4_IJEEENS3_9resources2v13HipEJZN8rajaperf5lcals8HYDRO_2D17runHipVariantImplILm256EEEvNSG_9VariantIDEEUlllE1_EEENS0_24HipStatementListExecutorISM_NS3_4listIJNS_9statement3ForILl0ENS_6policy3hip11hip_indexerINS_17iteration_mapping6DirectELNS_23kernel_sync_requirementE0EJNS_3hip11IndexGlobalILNS_9named_dimE1ELi8ELi0EEEEEEJNSQ_ILl1ENST_ISV_LSW_0EJNSY_ILSZ_0ELi32ELi0EEEEEEJNSP_6LambdaILl0EJEEEEEEEEEEEENS0_9LoopTypesINSO_IJvvEEES1A_EEEEEEvT0_.private_seg_size, 0
	.set _ZN4RAJA8internal22HipKernelLauncherFixedILi256ENS0_8LoopDataIN4camp5tupleIJNS_4SpanINS_9Iterators16numeric_iteratorIllPlEElEESA_EEENS4_IJEEENS3_9resources2v13HipEJZN8rajaperf5lcals8HYDRO_2D17runHipVariantImplILm256EEEvNSG_9VariantIDEEUlllE1_EEENS0_24HipStatementListExecutorISM_NS3_4listIJNS_9statement3ForILl0ENS_6policy3hip11hip_indexerINS_17iteration_mapping6DirectELNS_23kernel_sync_requirementE0EJNS_3hip11IndexGlobalILNS_9named_dimE1ELi8ELi0EEEEEEJNSQ_ILl1ENST_ISV_LSW_0EJNSY_ILSZ_0ELi32ELi0EEEEEEJNSP_6LambdaILl0EJEEEEEEEEEEEENS0_9LoopTypesINSO_IJvvEEES1A_EEEEEEvT0_.uses_vcc, 1
	.set _ZN4RAJA8internal22HipKernelLauncherFixedILi256ENS0_8LoopDataIN4camp5tupleIJNS_4SpanINS_9Iterators16numeric_iteratorIllPlEElEESA_EEENS4_IJEEENS3_9resources2v13HipEJZN8rajaperf5lcals8HYDRO_2D17runHipVariantImplILm256EEEvNSG_9VariantIDEEUlllE1_EEENS0_24HipStatementListExecutorISM_NS3_4listIJNS_9statement3ForILl0ENS_6policy3hip11hip_indexerINS_17iteration_mapping6DirectELNS_23kernel_sync_requirementE0EJNS_3hip11IndexGlobalILNS_9named_dimE1ELi8ELi0EEEEEEJNSQ_ILl1ENST_ISV_LSW_0EJNSY_ILSZ_0ELi32ELi0EEEEEEJNSP_6LambdaILl0EJEEEEEEEEEEEENS0_9LoopTypesINSO_IJvvEEES1A_EEEEEEvT0_.uses_flat_scratch, 0
	.set _ZN4RAJA8internal22HipKernelLauncherFixedILi256ENS0_8LoopDataIN4camp5tupleIJNS_4SpanINS_9Iterators16numeric_iteratorIllPlEElEESA_EEENS4_IJEEENS3_9resources2v13HipEJZN8rajaperf5lcals8HYDRO_2D17runHipVariantImplILm256EEEvNSG_9VariantIDEEUlllE1_EEENS0_24HipStatementListExecutorISM_NS3_4listIJNS_9statement3ForILl0ENS_6policy3hip11hip_indexerINS_17iteration_mapping6DirectELNS_23kernel_sync_requirementE0EJNS_3hip11IndexGlobalILNS_9named_dimE1ELi8ELi0EEEEEEJNSQ_ILl1ENST_ISV_LSW_0EJNSY_ILSZ_0ELi32ELi0EEEEEEJNSP_6LambdaILl0EJEEEEEEEEEEEENS0_9LoopTypesINSO_IJvvEEES1A_EEEEEEvT0_.has_dyn_sized_stack, 0
	.set _ZN4RAJA8internal22HipKernelLauncherFixedILi256ENS0_8LoopDataIN4camp5tupleIJNS_4SpanINS_9Iterators16numeric_iteratorIllPlEElEESA_EEENS4_IJEEENS3_9resources2v13HipEJZN8rajaperf5lcals8HYDRO_2D17runHipVariantImplILm256EEEvNSG_9VariantIDEEUlllE1_EEENS0_24HipStatementListExecutorISM_NS3_4listIJNS_9statement3ForILl0ENS_6policy3hip11hip_indexerINS_17iteration_mapping6DirectELNS_23kernel_sync_requirementE0EJNS_3hip11IndexGlobalILNS_9named_dimE1ELi8ELi0EEEEEEJNSQ_ILl1ENST_ISV_LSW_0EJNSY_ILSZ_0ELi32ELi0EEEEEEJNSP_6LambdaILl0EJEEEEEEEEEEEENS0_9LoopTypesINSO_IJvvEEES1A_EEEEEEvT0_.has_recursion, 0
	.set _ZN4RAJA8internal22HipKernelLauncherFixedILi256ENS0_8LoopDataIN4camp5tupleIJNS_4SpanINS_9Iterators16numeric_iteratorIllPlEElEESA_EEENS4_IJEEENS3_9resources2v13HipEJZN8rajaperf5lcals8HYDRO_2D17runHipVariantImplILm256EEEvNSG_9VariantIDEEUlllE1_EEENS0_24HipStatementListExecutorISM_NS3_4listIJNS_9statement3ForILl0ENS_6policy3hip11hip_indexerINS_17iteration_mapping6DirectELNS_23kernel_sync_requirementE0EJNS_3hip11IndexGlobalILNS_9named_dimE1ELi8ELi0EEEEEEJNSQ_ILl1ENST_ISV_LSW_0EJNSY_ILSZ_0ELi32ELi0EEEEEEJNSP_6LambdaILl0EJEEEEEEEEEEEENS0_9LoopTypesINSO_IJvvEEES1A_EEEEEEvT0_.has_indirect_call, 0
	.section	.AMDGPU.csdata,"",@progbits
; Kernel info:
; codeLenInByte = 684
; TotalNumSgprs: 22
; NumVgprs: 20
; ScratchSize: 0
; MemoryBound: 0
; FloatMode: 240
; IeeeMode: 1
; LDSByteSize: 0 bytes/workgroup (compile time only)
; SGPRBlocks: 2
; VGPRBlocks: 4
; NumSGPRsForWavesPerEU: 22
; NumVGPRsForWavesPerEU: 20
; Occupancy: 10
; WaveLimiterHint : 0
; COMPUTE_PGM_RSRC2:SCRATCH_EN: 0
; COMPUTE_PGM_RSRC2:USER_SGPR: 6
; COMPUTE_PGM_RSRC2:TRAP_HANDLER: 0
; COMPUTE_PGM_RSRC2:TGID_X_EN: 1
; COMPUTE_PGM_RSRC2:TGID_Y_EN: 1
; COMPUTE_PGM_RSRC2:TGID_Z_EN: 0
; COMPUTE_PGM_RSRC2:TIDIG_COMP_CNT: 1
	.section	.AMDGPU.gpr_maximums,"",@progbits
	.set amdgpu.max_num_vgpr, 0
	.set amdgpu.max_num_agpr, 0
	.set amdgpu.max_num_sgpr, 0
	.section	.AMDGPU.csdata,"",@progbits
	.type	__hip_cuid_1baed4abb8c999e3,@object ; @__hip_cuid_1baed4abb8c999e3
	.section	.bss,"aw",@nobits
	.globl	__hip_cuid_1baed4abb8c999e3
__hip_cuid_1baed4abb8c999e3:
	.byte	0                               ; 0x0
	.size	__hip_cuid_1baed4abb8c999e3, 1

	.ident	"AMD clang version 22.0.0git (https://github.com/RadeonOpenCompute/llvm-project roc-7.2.4 26084 f58b06dce1f9c15707c5f808fd002e18c2accf7e)"
	.section	".note.GNU-stack","",@progbits
	.addrsig
	.addrsig_sym __hip_cuid_1baed4abb8c999e3
	.amdgpu_metadata
---
amdhsa.kernels:
  - .args:
      - .address_space:  global
        .offset:         0
        .size:           8
        .value_kind:     global_buffer
      - .address_space:  global
        .offset:         8
        .size:           8
        .value_kind:     global_buffer
      - .address_space:  global
        .offset:         16
        .size:           8
        .value_kind:     global_buffer
      - .address_space:  global
        .offset:         24
        .size:           8
        .value_kind:     global_buffer
      - .address_space:  global
        .offset:         32
        .size:           8
        .value_kind:     global_buffer
      - .address_space:  global
        .offset:         40
        .size:           8
        .value_kind:     global_buffer
      - .offset:         48
        .size:           8
        .value_kind:     by_value
      - .offset:         56
        .size:           8
        .value_kind:     by_value
    .group_segment_fixed_size: 0
    .kernarg_segment_align: 8
    .kernarg_segment_size: 64
    .language:       OpenCL C
    .language_version:
      - 2
      - 0
    .max_flat_workgroup_size: 256
    .name:           _ZN8rajaperf5lcals9hydro_2d1ILm32ELm8EEEvPdS2_S2_S2_S2_S2_ll
    .private_segment_fixed_size: 0
    .sgpr_count:     28
    .sgpr_spill_count: 0
    .symbol:         _ZN8rajaperf5lcals9hydro_2d1ILm32ELm8EEEvPdS2_S2_S2_S2_S2_ll.kd
    .uniform_work_group_size: 1
    .uses_dynamic_stack: false
    .vgpr_count:     28
    .vgpr_spill_count: 0
    .wavefront_size: 64
  - .args:
      - .address_space:  global
        .offset:         0
        .size:           8
        .value_kind:     global_buffer
      - .address_space:  global
        .offset:         8
        .size:           8
        .value_kind:     global_buffer
      - .address_space:  global
        .offset:         16
        .size:           8
        .value_kind:     global_buffer
      - .address_space:  global
        .offset:         24
        .size:           8
        .value_kind:     global_buffer
      - .address_space:  global
        .offset:         32
        .size:           8
        .value_kind:     global_buffer
      - .address_space:  global
        .offset:         40
        .size:           8
        .value_kind:     global_buffer
      - .offset:         48
        .size:           8
        .value_kind:     by_value
      - .offset:         56
        .size:           8
        .value_kind:     by_value
      - .offset:         64
        .size:           8
        .value_kind:     by_value
    .group_segment_fixed_size: 0
    .kernarg_segment_align: 8
    .kernarg_segment_size: 72
    .language:       OpenCL C
    .language_version:
      - 2
      - 0
    .max_flat_workgroup_size: 256
    .name:           _ZN8rajaperf5lcals9hydro_2d2ILm32ELm8EEEvPdS2_S2_S2_S2_S2_dll
    .private_segment_fixed_size: 0
    .sgpr_count:     30
    .sgpr_spill_count: 0
    .symbol:         _ZN8rajaperf5lcals9hydro_2d2ILm32ELm8EEEvPdS2_S2_S2_S2_S2_dll.kd
    .uniform_work_group_size: 1
    .uses_dynamic_stack: false
    .vgpr_count:     24
    .vgpr_spill_count: 0
    .wavefront_size: 64
  - .args:
      - .address_space:  global
        .offset:         0
        .size:           8
        .value_kind:     global_buffer
      - .address_space:  global
        .offset:         8
        .size:           8
        .value_kind:     global_buffer
      - .address_space:  global
        .offset:         16
        .size:           8
        .value_kind:     global_buffer
      - .address_space:  global
        .offset:         24
        .size:           8
        .value_kind:     global_buffer
      - .address_space:  global
        .offset:         32
        .size:           8
        .value_kind:     global_buffer
      - .address_space:  global
        .offset:         40
        .size:           8
        .value_kind:     global_buffer
      - .offset:         48
        .size:           8
        .value_kind:     by_value
      - .offset:         56
        .size:           8
        .value_kind:     by_value
      - .offset:         64
        .size:           8
        .value_kind:     by_value
    .group_segment_fixed_size: 0
    .kernarg_segment_align: 8
    .kernarg_segment_size: 72
    .language:       OpenCL C
    .language_version:
      - 2
      - 0
    .max_flat_workgroup_size: 256
    .name:           _ZN8rajaperf5lcals9hydro_2d3ILm32ELm8EEEvPdS2_S2_S2_S2_S2_dll
    .private_segment_fixed_size: 0
    .sgpr_count:     30
    .sgpr_spill_count: 0
    .symbol:         _ZN8rajaperf5lcals9hydro_2d3ILm32ELm8EEEvPdS2_S2_S2_S2_S2_dll.kd
    .uniform_work_group_size: 1
    .uses_dynamic_stack: false
    .vgpr_count:     10
    .vgpr_spill_count: 0
    .wavefront_size: 64
  - .args:
      - .offset:         0
        .size:           512
        .value_kind:     by_value
    .group_segment_fixed_size: 0
    .kernarg_segment_align: 8
    .kernarg_segment_size: 512
    .language:       OpenCL C
    .language_version:
      - 2
      - 0
    .max_flat_workgroup_size: 256
    .name:           _ZN4RAJA8internal22HipKernelLauncherFixedILi256ENS0_8LoopDataIN4camp5tupleIJNS_4SpanINS_9Iterators16numeric_iteratorIllPlEElEESA_EEENS4_IJEEENS3_9resources2v13HipEJZN8rajaperf5lcals8HYDRO_2D17runHipVariantImplILm256EEEvNSG_9VariantIDEEUlllE_EEENS0_24HipStatementListExecutorISM_NS3_4listIJNS_9statement3ForILl0ENS_6policy3hip11hip_indexerINS_17iteration_mapping6DirectELNS_23kernel_sync_requirementE0EJNS_3hip11IndexGlobalILNS_9named_dimE1ELi8ELi0EEEEEEJNSQ_ILl1ENST_ISV_LSW_0EJNSY_ILSZ_0ELi32ELi0EEEEEEJNSP_6LambdaILl0EJEEEEEEEEEEEENS0_9LoopTypesINSO_IJvvEEES1A_EEEEEEvT0_
    .private_segment_fixed_size: 0
    .sgpr_count:     20
    .sgpr_spill_count: 0
    .symbol:         _ZN4RAJA8internal22HipKernelLauncherFixedILi256ENS0_8LoopDataIN4camp5tupleIJNS_4SpanINS_9Iterators16numeric_iteratorIllPlEElEESA_EEENS4_IJEEENS3_9resources2v13HipEJZN8rajaperf5lcals8HYDRO_2D17runHipVariantImplILm256EEEvNSG_9VariantIDEEUlllE_EEENS0_24HipStatementListExecutorISM_NS3_4listIJNS_9statement3ForILl0ENS_6policy3hip11hip_indexerINS_17iteration_mapping6DirectELNS_23kernel_sync_requirementE0EJNS_3hip11IndexGlobalILNS_9named_dimE1ELi8ELi0EEEEEEJNSQ_ILl1ENST_ISV_LSW_0EJNSY_ILSZ_0ELi32ELi0EEEEEEJNSP_6LambdaILl0EJEEEEEEEEEEEENS0_9LoopTypesINSO_IJvvEEES1A_EEEEEEvT0_.kd
    .uniform_work_group_size: 1
    .uses_dynamic_stack: false
    .vgpr_count:     30
    .vgpr_spill_count: 0
    .wavefront_size: 64
  - .args:
      - .offset:         0
        .size:           520
        .value_kind:     by_value
    .group_segment_fixed_size: 0
    .kernarg_segment_align: 8
    .kernarg_segment_size: 520
    .language:       OpenCL C
    .language_version:
      - 2
      - 0
    .max_flat_workgroup_size: 256
    .name:           _ZN4RAJA8internal22HipKernelLauncherFixedILi256ENS0_8LoopDataIN4camp5tupleIJNS_4SpanINS_9Iterators16numeric_iteratorIllPlEElEESA_EEENS4_IJEEENS3_9resources2v13HipEJZN8rajaperf5lcals8HYDRO_2D17runHipVariantImplILm256EEEvNSG_9VariantIDEEUlllE0_EEENS0_24HipStatementListExecutorISM_NS3_4listIJNS_9statement3ForILl0ENS_6policy3hip11hip_indexerINS_17iteration_mapping6DirectELNS_23kernel_sync_requirementE0EJNS_3hip11IndexGlobalILNS_9named_dimE1ELi8ELi0EEEEEEJNSQ_ILl1ENST_ISV_LSW_0EJNSY_ILSZ_0ELi32ELi0EEEEEEJNSP_6LambdaILl0EJEEEEEEEEEEEENS0_9LoopTypesINSO_IJvvEEES1A_EEEEEEvT0_
    .private_segment_fixed_size: 0
    .sgpr_count:     20
    .sgpr_spill_count: 0
    .symbol:         _ZN4RAJA8internal22HipKernelLauncherFixedILi256ENS0_8LoopDataIN4camp5tupleIJNS_4SpanINS_9Iterators16numeric_iteratorIllPlEElEESA_EEENS4_IJEEENS3_9resources2v13HipEJZN8rajaperf5lcals8HYDRO_2D17runHipVariantImplILm256EEEvNSG_9VariantIDEEUlllE0_EEENS0_24HipStatementListExecutorISM_NS3_4listIJNS_9statement3ForILl0ENS_6policy3hip11hip_indexerINS_17iteration_mapping6DirectELNS_23kernel_sync_requirementE0EJNS_3hip11IndexGlobalILNS_9named_dimE1ELi8ELi0EEEEEEJNSQ_ILl1ENST_ISV_LSW_0EJNSY_ILSZ_0ELi32ELi0EEEEEEJNSP_6LambdaILl0EJEEEEEEEEEEEENS0_9LoopTypesINSO_IJvvEEES1A_EEEEEEvT0_.kd
    .uniform_work_group_size: 1
    .uses_dynamic_stack: false
    .vgpr_count:     24
    .vgpr_spill_count: 0
    .wavefront_size: 64
  - .args:
      - .offset:         0
        .size:           520
        .value_kind:     by_value
    .group_segment_fixed_size: 0
    .kernarg_segment_align: 8
    .kernarg_segment_size: 520
    .language:       OpenCL C
    .language_version:
      - 2
      - 0
    .max_flat_workgroup_size: 256
    .name:           _ZN4RAJA8internal22HipKernelLauncherFixedILi256ENS0_8LoopDataIN4camp5tupleIJNS_4SpanINS_9Iterators16numeric_iteratorIllPlEElEESA_EEENS4_IJEEENS3_9resources2v13HipEJZN8rajaperf5lcals8HYDRO_2D17runHipVariantImplILm256EEEvNSG_9VariantIDEEUlllE1_EEENS0_24HipStatementListExecutorISM_NS3_4listIJNS_9statement3ForILl0ENS_6policy3hip11hip_indexerINS_17iteration_mapping6DirectELNS_23kernel_sync_requirementE0EJNS_3hip11IndexGlobalILNS_9named_dimE1ELi8ELi0EEEEEEJNSQ_ILl1ENST_ISV_LSW_0EJNSY_ILSZ_0ELi32ELi0EEEEEEJNSP_6LambdaILl0EJEEEEEEEEEEEENS0_9LoopTypesINSO_IJvvEEES1A_EEEEEEvT0_
    .private_segment_fixed_size: 0
    .sgpr_count:     22
    .sgpr_spill_count: 0
    .symbol:         _ZN4RAJA8internal22HipKernelLauncherFixedILi256ENS0_8LoopDataIN4camp5tupleIJNS_4SpanINS_9Iterators16numeric_iteratorIllPlEElEESA_EEENS4_IJEEENS3_9resources2v13HipEJZN8rajaperf5lcals8HYDRO_2D17runHipVariantImplILm256EEEvNSG_9VariantIDEEUlllE1_EEENS0_24HipStatementListExecutorISM_NS3_4listIJNS_9statement3ForILl0ENS_6policy3hip11hip_indexerINS_17iteration_mapping6DirectELNS_23kernel_sync_requirementE0EJNS_3hip11IndexGlobalILNS_9named_dimE1ELi8ELi0EEEEEEJNSQ_ILl1ENST_ISV_LSW_0EJNSY_ILSZ_0ELi32ELi0EEEEEEJNSP_6LambdaILl0EJEEEEEEEEEEEENS0_9LoopTypesINSO_IJvvEEES1A_EEEEEEvT0_.kd
    .uniform_work_group_size: 1
    .uses_dynamic_stack: false
    .vgpr_count:     20
    .vgpr_spill_count: 0
    .wavefront_size: 64
amdhsa.target:   amdgcn-amd-amdhsa--gfx906
amdhsa.version:
  - 1
  - 2
...

	.end_amdgpu_metadata
